;; amdgpu-corpus repo=ROCm/rocFFT kind=compiled arch=gfx906 opt=O3
	.text
	.amdgcn_target "amdgcn-amd-amdhsa--gfx906"
	.amdhsa_code_object_version 6
	.protected	bluestein_single_fwd_len432_dim1_half_op_CI_CI ; -- Begin function bluestein_single_fwd_len432_dim1_half_op_CI_CI
	.globl	bluestein_single_fwd_len432_dim1_half_op_CI_CI
	.p2align	8
	.type	bluestein_single_fwd_len432_dim1_half_op_CI_CI,@function
bluestein_single_fwd_len432_dim1_half_op_CI_CI: ; @bluestein_single_fwd_len432_dim1_half_op_CI_CI
; %bb.0:
	s_load_dwordx4 s[12:15], s[4:5], 0x28
	v_mul_u32_u24_e32 v1, 0x97c, v0
	v_lshrrev_b32_e32 v1, 16, v1
	v_lshl_add_u32 v17, s6, 1, v1
	v_mov_b32_e32 v18, 0
	s_waitcnt lgkmcnt(0)
	v_cmp_gt_u64_e32 vcc, s[12:13], v[17:18]
	s_and_saveexec_b64 s[0:1], vcc
	s_cbranch_execz .LBB0_31
; %bb.1:
	s_load_dwordx4 s[8:11], s[4:5], 0x18
	s_load_dwordx2 s[12:13], s[4:5], 0x0
	v_mul_lo_u16_e32 v2, 27, v1
	v_sub_u16_e32 v75, v0, v2
	v_lshlrev_b32_e32 v86, 2, v75
	s_waitcnt lgkmcnt(0)
	s_load_dwordx4 s[0:3], s[8:9], 0x0
	global_load_dword v76, v86, s[12:13]
	v_or_b32_e32 v71, 0x120, v75
	v_mov_b32_e32 v12, s13
	v_mov_b32_e32 v11, 0xfffffe2c
	s_waitcnt lgkmcnt(0)
	v_mad_u64_u32 v[2:3], s[6:7], s2, v17, 0
	v_mad_u64_u32 v[4:5], s[6:7], s0, v75, 0
	v_mov_b32_e32 v0, v3
	s_mul_i32 s16, s1, 0xfffffefb
	v_mov_b32_e32 v3, v5
	v_mad_u64_u32 v[5:6], s[2:3], s3, v17, v[0:1]
	v_mad_u64_u32 v[6:7], s[2:3], s1, v75, v[3:4]
	v_mov_b32_e32 v3, v5
	v_lshlrev_b64 v[2:3], 2, v[2:3]
	v_mov_b32_e32 v0, s15
	v_mov_b32_e32 v5, v6
	v_add_co_u32_e32 v6, vcc, s14, v2
	v_addc_co_u32_e32 v7, vcc, v0, v3, vcc
	v_lshlrev_b64 v[2:3], 2, v[4:5]
	s_mul_i32 s2, s1, 0x90
	v_add_co_u32_e32 v2, vcc, v6, v2
	v_addc_co_u32_e32 v3, vcc, v7, v3, vcc
	global_load_dword v8, v[2:3], off
	s_mul_hi_u32 s3, s0, 0x90
	s_add_i32 s3, s3, s2
	s_mul_i32 s2, s0, 0x90
	s_lshl_b64 s[2:3], s[2:3], 2
	v_mov_b32_e32 v9, s3
	v_add_co_u32_e32 v2, vcc, s2, v2
	v_addc_co_u32_e32 v3, vcc, v3, v9, vcc
	global_load_dword v10, v[2:3], off
	global_load_dword v74, v86, s[12:13] offset:576
	v_and_b32_e32 v0, 1, v1
	v_mov_b32_e32 v1, 0x1b0
	v_cmp_eq_u32_e32 vcc, 1, v0
	v_cndmask_b32_e32 v87, 0, v1, vcc
	v_mad_u64_u32 v[0:1], s[14:15], s0, v71, 0
	v_add_co_u32_e32 v15, vcc, s12, v86
	v_mad_u64_u32 v[4:5], s[14:15], s1, v71, v[1:2]
	v_addc_co_u32_e32 v16, vcc, 0, v12, vcc
	v_mov_b32_e32 v1, v4
	v_lshlrev_b64 v[0:1], 2, v[0:1]
	s_mul_i32 s15, s1, 0xfffffe2c
	v_add_co_u32_e32 v0, vcc, v6, v0
	v_addc_co_u32_e32 v1, vcc, v7, v1, vcc
	s_mul_hi_u32 s1, s0, 0xfffffefb
	s_load_dwordx4 s[8:11], s[10:11], 0x0
	global_load_dword v73, v86, s[12:13] offset:1152
	global_load_dword v69, v86, s[12:13] offset:1260
	;; [unrolled: 1-line block ×8, first 2 shown]
	global_load_dword v4, v[0:1], off
	s_mul_i32 s14, s0, 0xfffffefb
	s_sub_i32 s17, s15, s0
	s_sub_i32 s15, s1, s0
	v_mad_u64_u32 v[0:1], s[0:1], s0, v11, v[2:3]
	s_add_i32 s15, s15, s16
	s_lshl_b64 s[14:15], s[14:15], 2
	v_add_u32_e32 v1, s17, v1
	global_load_dword v3, v[0:1], off
	v_add_co_u32_e32 v0, vcc, s2, v0
	v_addc_co_u32_e32 v1, vcc, v1, v9, vcc
	global_load_dword v5, v[0:1], off
	v_add_co_u32_e32 v0, vcc, s2, v0
	v_addc_co_u32_e32 v1, vcc, v1, v9, vcc
	global_load_dword v6, v[0:1], off
	v_mov_b32_e32 v2, s15
	v_add_co_u32_e32 v0, vcc, s14, v0
	v_addc_co_u32_e32 v1, vcc, v1, v2, vcc
	v_lshlrev_b32_e32 v77, 2, v87
	v_add_u32_e32 v59, v77, v86
	s_load_dwordx2 s[6:7], s[4:5], 0x38
	v_cmp_gt_u16_e64 s[0:1], 9, v75
	s_waitcnt vmcnt(14)
	v_lshrrev_b32_e32 v7, 16, v8
	v_mul_f16_sdwa v11, v76, v8 dst_sel:DWORD dst_unused:UNUSED_PAD src0_sel:WORD_1 src1_sel:DWORD
	v_mul_f16_sdwa v12, v76, v7 dst_sel:DWORD dst_unused:UNUSED_PAD src0_sel:WORD_1 src1_sel:DWORD
	v_fma_f16 v7, v76, v7, -v11
	global_load_dword v11, v[0:1], off
	v_add_co_u32_e32 v0, vcc, s2, v0
	v_fma_f16 v8, v76, v8, v12
	v_addc_co_u32_e32 v1, vcc, v1, v9, vcc
	v_pack_b32_f16 v7, v8, v7
	global_load_dword v8, v[0:1], off
	v_add_co_u32_e32 v0, vcc, s2, v0
	v_addc_co_u32_e32 v1, vcc, v1, v9, vcc
	global_load_dword v14, v[0:1], off
	global_load_dword v66, v86, s[12:13] offset:1368
	v_add_co_u32_e32 v0, vcc, s14, v0
	v_addc_co_u32_e32 v1, vcc, v1, v2, vcc
	global_load_dword v18, v[0:1], off
	s_waitcnt vmcnt(18)
	v_lshrrev_b32_e32 v12, 16, v10
	s_waitcnt vmcnt(17)
	v_mul_f16_sdwa v13, v74, v12 dst_sel:DWORD dst_unused:UNUSED_PAD src0_sel:WORD_1 src1_sel:DWORD
	v_add_co_u32_e32 v0, vcc, s2, v0
	v_fma_f16 v13, v74, v10, v13
	v_mul_f16_sdwa v10, v74, v10 dst_sel:DWORD dst_unused:UNUSED_PAD src0_sel:WORD_1 src1_sel:DWORD
	v_addc_co_u32_e32 v1, vcc, v1, v9, vcc
	v_fma_f16 v10, v74, v12, -v10
	global_load_dword v12, v[0:1], off
	global_load_dword v64, v86, s[12:13] offset:900
	v_add_co_u32_e32 v0, vcc, s2, v0
	v_addc_co_u32_e32 v1, vcc, v1, v9, vcc
	v_pack_b32_f16 v10, v13, v10
	global_load_dword v13, v[0:1], off
	global_load_dword v63, v86, s[12:13] offset:1476
	v_add_co_u32_e32 v0, vcc, s14, v0
	v_addc_co_u32_e32 v1, vcc, v1, v2, vcc
	global_load_dword v2, v[0:1], off
	v_add_co_u32_e32 v0, vcc, s2, v0
	ds_write_b32 v59, v10 offset:576
	v_addc_co_u32_e32 v1, vcc, v1, v9, vcc
	global_load_dword v10, v[0:1], off
	global_load_dword v60, v86, s[12:13] offset:1584
	global_load_dword v61, v86, s[12:13] offset:1008
	v_add_co_u32_e32 v0, vcc, s2, v0
	v_addc_co_u32_e32 v1, vcc, v1, v9, vcc
	global_load_dword v9, v[0:1], off
	s_waitcnt vmcnt(17)
	v_lshrrev_b32_e32 v19, 16, v4
	v_mul_f16_sdwa v20, v73, v19 dst_sel:DWORD dst_unused:UNUSED_PAD src0_sel:WORD_1 src1_sel:DWORD
	v_fma_f16 v20, v73, v4, v20
	v_mul_f16_sdwa v4, v73, v4 dst_sel:DWORD dst_unused:UNUSED_PAD src0_sel:WORD_1 src1_sel:DWORD
	v_fma_f16 v4, v73, v19, -v4
	v_pack_b32_f16 v4, v20, v4
	ds_write_b32 v59, v4 offset:1152
	s_waitcnt vmcnt(16)
	v_lshrrev_b32_e32 v4, 16, v3
	v_mul_f16_sdwa v19, v72, v4 dst_sel:DWORD dst_unused:UNUSED_PAD src0_sel:WORD_1 src1_sel:DWORD
	v_fma_f16 v19, v72, v3, v19
	v_mul_f16_sdwa v3, v72, v3 dst_sel:DWORD dst_unused:UNUSED_PAD src0_sel:WORD_1 src1_sel:DWORD
	v_fma_f16 v3, v72, v4, -v3
	v_pack_b32_f16 v3, v19, v3
	ds_write2_b32 v59, v7, v3 offset1:27
	s_waitcnt vmcnt(15)
	v_lshrrev_b32_e32 v3, 16, v5
	v_mul_f16_sdwa v4, v70, v3 dst_sel:DWORD dst_unused:UNUSED_PAD src0_sel:WORD_1 src1_sel:DWORD
	v_fma_f16 v4, v70, v5, v4
	v_mul_f16_sdwa v5, v70, v5 dst_sel:DWORD dst_unused:UNUSED_PAD src0_sel:WORD_1 src1_sel:DWORD
	v_fma_f16 v3, v70, v3, -v5
	v_pack_b32_f16 v3, v4, v3
	s_waitcnt vmcnt(14)
	v_lshrrev_b32_e32 v4, 16, v6
	v_mul_f16_sdwa v5, v69, v4 dst_sel:DWORD dst_unused:UNUSED_PAD src0_sel:WORD_1 src1_sel:DWORD
	v_fma_f16 v5, v69, v6, v5
	v_mul_f16_sdwa v6, v69, v6 dst_sel:DWORD dst_unused:UNUSED_PAD src0_sel:WORD_1 src1_sel:DWORD
	v_fma_f16 v4, v69, v4, -v6
	v_pack_b32_f16 v5, v5, v4
	s_waitcnt vmcnt(13)
	v_lshrrev_b32_e32 v4, 16, v11
	v_mul_f16_sdwa v6, v68, v4 dst_sel:DWORD dst_unused:UNUSED_PAD src0_sel:WORD_1 src1_sel:DWORD
	v_mul_f16_sdwa v7, v68, v11 dst_sel:DWORD dst_unused:UNUSED_PAD src0_sel:WORD_1 src1_sel:DWORD
	v_fma_f16 v6, v68, v11, v6
	v_fma_f16 v4, v68, v4, -v7
	v_pack_b32_f16 v6, v6, v4
	s_waitcnt vmcnt(12)
	v_lshrrev_b32_e32 v4, 16, v8
	v_mul_f16_sdwa v7, v67, v4 dst_sel:DWORD dst_unused:UNUSED_PAD src0_sel:WORD_1 src1_sel:DWORD
	v_fma_f16 v7, v67, v8, v7
	v_mul_f16_sdwa v8, v67, v8 dst_sel:DWORD dst_unused:UNUSED_PAD src0_sel:WORD_1 src1_sel:DWORD
	v_fma_f16 v4, v67, v4, -v8
	v_pack_b32_f16 v4, v7, v4
	ds_write2_b32 v59, v3, v4 offset0:171 offset1:198
	s_waitcnt vmcnt(11)
	v_lshrrev_b32_e32 v3, 16, v14
	s_waitcnt vmcnt(10)
	v_mul_f16_sdwa v4, v66, v3 dst_sel:DWORD dst_unused:UNUSED_PAD src0_sel:WORD_1 src1_sel:DWORD
	v_mul_f16_sdwa v7, v66, v14 dst_sel:DWORD dst_unused:UNUSED_PAD src0_sel:WORD_1 src1_sel:DWORD
	v_fma_f16 v4, v66, v14, v4
	v_fma_f16 v3, v66, v3, -v7
	v_pack_b32_f16 v3, v4, v3
	v_add_u32_e32 v4, 0x400, v59
	ds_write2_b32 v4, v5, v3 offset0:59 offset1:86
	s_waitcnt vmcnt(9)
	v_lshrrev_b32_e32 v3, 16, v18
	v_mul_f16_sdwa v5, v65, v3 dst_sel:DWORD dst_unused:UNUSED_PAD src0_sel:WORD_1 src1_sel:DWORD
	v_mul_f16_sdwa v7, v65, v18 dst_sel:DWORD dst_unused:UNUSED_PAD src0_sel:WORD_1 src1_sel:DWORD
	v_fma_f16 v5, v65, v18, v5
	v_fma_f16 v3, v65, v3, -v7
	v_pack_b32_f16 v3, v5, v3
	ds_write2_b32 v59, v6, v3 offset0:54 offset1:81
	s_waitcnt vmcnt(8)
	v_lshrrev_b32_e32 v3, 16, v12
	s_waitcnt vmcnt(7)
	v_mul_f16_sdwa v5, v64, v3 dst_sel:DWORD dst_unused:UNUSED_PAD src0_sel:WORD_1 src1_sel:DWORD
	v_mul_f16_sdwa v6, v64, v12 dst_sel:DWORD dst_unused:UNUSED_PAD src0_sel:WORD_1 src1_sel:DWORD
	v_fma_f16 v5, v64, v12, v5
	v_fma_f16 v3, v64, v3, -v6
	v_pack_b32_f16 v3, v5, v3
	s_waitcnt vmcnt(6)
	v_lshrrev_b32_e32 v5, 16, v13
	s_waitcnt vmcnt(5)
	v_mul_f16_sdwa v6, v63, v5 dst_sel:DWORD dst_unused:UNUSED_PAD src0_sel:WORD_1 src1_sel:DWORD
	v_mul_f16_sdwa v7, v63, v13 dst_sel:DWORD dst_unused:UNUSED_PAD src0_sel:WORD_1 src1_sel:DWORD
	v_fma_f16 v6, v63, v13, v6
	v_fma_f16 v5, v63, v5, -v7
	v_pack_b32_f16 v5, v6, v5
	s_waitcnt vmcnt(4)
	v_lshrrev_b32_e32 v6, 16, v2
	v_mul_f16_sdwa v7, v62, v6 dst_sel:DWORD dst_unused:UNUSED_PAD src0_sel:WORD_1 src1_sel:DWORD
	v_fma_f16 v7, v62, v2, v7
	v_mul_f16_sdwa v2, v62, v2 dst_sel:DWORD dst_unused:UNUSED_PAD src0_sel:WORD_1 src1_sel:DWORD
	v_fma_f16 v2, v62, v6, -v2
	v_pack_b32_f16 v2, v7, v2
	ds_write_b32 v59, v2 offset:432
	s_waitcnt vmcnt(3)
	v_lshrrev_b32_e32 v2, 16, v10
	s_waitcnt vmcnt(1)
	v_mul_f16_sdwa v6, v61, v2 dst_sel:DWORD dst_unused:UNUSED_PAD src0_sel:WORD_1 src1_sel:DWORD
	v_mul_f16_sdwa v7, v61, v10 dst_sel:DWORD dst_unused:UNUSED_PAD src0_sel:WORD_1 src1_sel:DWORD
	v_fma_f16 v6, v61, v10, v6
	v_fma_f16 v2, v61, v2, -v7
	v_pack_b32_f16 v2, v6, v2
	ds_write2_b32 v59, v3, v2 offset0:225 offset1:252
	s_waitcnt vmcnt(0)
	v_lshrrev_b32_e32 v2, 16, v9
	v_mul_f16_sdwa v3, v60, v2 dst_sel:DWORD dst_unused:UNUSED_PAD src0_sel:WORD_1 src1_sel:DWORD
	v_mul_f16_sdwa v6, v60, v9 dst_sel:DWORD dst_unused:UNUSED_PAD src0_sel:WORD_1 src1_sel:DWORD
	v_fma_f16 v3, v60, v9, v3
	v_fma_f16 v2, v60, v2, -v6
	v_pack_b32_f16 v2, v3, v2
	ds_write2_b32 v4, v5, v2 offset0:113 offset1:140
	s_and_saveexec_b64 s[16:17], s[0:1]
	s_cbranch_execz .LBB0_3
; %bb.2:
	v_mov_b32_e32 v2, s15
	v_add_co_u32_e32 v0, vcc, s14, v0
	v_addc_co_u32_e32 v1, vcc, v1, v2, vcc
	global_load_dword v2, v[0:1], off
	global_load_dword v3, v[15:16], off offset:540
	v_mov_b32_e32 v5, s3
	v_add_co_u32_e32 v0, vcc, s2, v0
	v_addc_co_u32_e32 v1, vcc, v1, v5, vcc
	global_load_dword v6, v[0:1], off
	global_load_dword v7, v[15:16], off offset:1116
	v_add_co_u32_e32 v0, vcc, s2, v0
	v_addc_co_u32_e32 v1, vcc, v1, v5, vcc
	global_load_dword v5, v[0:1], off
	global_load_dword v8, v[15:16], off offset:1692
	v_add_u32_e32 v0, 0x200, v59
	s_waitcnt vmcnt(5)
	v_lshrrev_b32_e32 v1, 16, v2
	s_waitcnt vmcnt(4)
	v_mul_f16_sdwa v9, v3, v2 dst_sel:DWORD dst_unused:UNUSED_PAD src0_sel:WORD_1 src1_sel:DWORD
	v_mul_f16_sdwa v10, v3, v1 dst_sel:DWORD dst_unused:UNUSED_PAD src0_sel:WORD_1 src1_sel:DWORD
	v_fma_f16 v1, v3, v1, -v9
	v_fma_f16 v2, v3, v2, v10
	v_pack_b32_f16 v1, v2, v1
	s_waitcnt vmcnt(3)
	v_lshrrev_b32_e32 v9, 16, v6
	s_waitcnt vmcnt(2)
	v_mul_f16_sdwa v11, v7, v6 dst_sel:DWORD dst_unused:UNUSED_PAD src0_sel:WORD_1 src1_sel:DWORD
	v_mul_f16_sdwa v3, v7, v9 dst_sel:DWORD dst_unused:UNUSED_PAD src0_sel:WORD_1 src1_sel:DWORD
	v_fma_f16 v9, v7, v9, -v11
	v_fma_f16 v2, v7, v6, v3
	s_waitcnt vmcnt(1)
	v_lshrrev_b32_e32 v10, 16, v5
	s_waitcnt vmcnt(0)
	v_mul_f16_sdwa v11, v8, v5 dst_sel:DWORD dst_unused:UNUSED_PAD src0_sel:WORD_1 src1_sel:DWORD
	v_mul_f16_sdwa v3, v8, v10 dst_sel:DWORD dst_unused:UNUSED_PAD src0_sel:WORD_1 src1_sel:DWORD
	v_fma_f16 v6, v8, v10, -v11
	v_pack_b32_f16 v2, v2, v9
	v_fma_f16 v3, v8, v5, v3
	ds_write2_b32 v0, v1, v2 offset0:7 offset1:151
	v_pack_b32_f16 v0, v3, v6
	ds_write_b32 v59, v0 offset:1692
.LBB0_3:
	s_or_b64 exec, exec, s[16:17]
	s_waitcnt lgkmcnt(0)
	; wave barrier
	s_waitcnt lgkmcnt(0)
	ds_read2_b32 v[12:13], v59 offset1:27
	ds_read2_b32 v[2:3], v59 offset0:108 offset1:144
	ds_read2_b32 v[18:19], v4 offset0:32 offset1:59
	;; [unrolled: 1-line block ×6, first 2 shown]
	ds_read_b32 v21, v59 offset:1584
	s_load_dwordx2 s[2:3], s[4:5], 0x8
                                        ; implicit-def: $vgpr0
                                        ; implicit-def: $vgpr14
	s_and_saveexec_b64 s[4:5], s[0:1]
	s_cbranch_execz .LBB0_5
; %bb.4:
	v_add_u32_e32 v0, 0x200, v59
	ds_read2_b32 v[0:1], v0 offset0:7 offset1:151
	ds_read_b32 v14, v59 offset:1692
.LBB0_5:
	s_or_b64 exec, exec, s[4:5]
	v_add_co_u32_e32 v97, vcc, 27, v75
	v_addc_co_u32_e64 v20, s[4:5], 0, 0, vcc
	v_add_co_u32_e32 v96, vcc, 54, v75
	v_add_co_u32_e32 v95, vcc, 0x51, v75
	;; [unrolled: 1-line block ×3, first 2 shown]
	s_movk_i32 s4, 0x87
	v_add_co_u32_e32 v92, vcc, s4, v75
	v_addc_co_u32_e64 v93, s[4:5], 0, 0, vcc
	s_waitcnt lgkmcnt(0)
	v_pk_add_f16 v25, v1, v14
	v_pk_add_f16 v28, v1, v14 neg_lo:[0,1] neg_hi:[0,1]
	s_movk_i32 s4, 0x3aee
	v_pk_fma_f16 v29, v25, 0.5, v0 op_sel_hi:[1,0,1] neg_lo:[1,0,0] neg_hi:[1,0,0]
	v_pk_mul_f16 v28, v28, s4 op_sel_hi:[1,0]
	v_pk_add_f16 v25, v29, v28 op_sel:[0,1] op_sel_hi:[1,0]
	v_pk_add_f16 v48, v29, v28 op_sel:[0,1] op_sel_hi:[1,0] neg_lo:[0,1] neg_hi:[0,1]
	v_mul_lo_u16_e32 v28, 3, v75
	v_pk_add_f16 v22, v12, v3
	v_lshl_add_u32 v78, v28, 2, v77
	v_pk_add_f16 v28, v3, v18
	v_pk_add_f16 v3, v3, v18 neg_lo:[0,1] neg_hi:[0,1]
	v_pk_fma_f16 v12, v28, 0.5, v12 op_sel_hi:[1,0,1] neg_lo:[1,0,0] neg_hi:[1,0,0]
	v_pk_mul_f16 v3, v3, s4 op_sel_hi:[1,0]
	v_pk_add_f16 v22, v22, v18
	v_pk_add_f16 v18, v12, v3 op_sel:[0,1] op_sel_hi:[1,0]
	v_pk_add_f16 v3, v12, v3 op_sel:[0,1] op_sel_hi:[1,0] neg_lo:[0,1] neg_hi:[0,1]
	s_mov_b32 s14, 0xffff
	v_bfi_b32 v12, s14, v18, v3
	v_pk_add_f16 v23, v13, v10
	s_waitcnt lgkmcnt(0)
	; wave barrier
	ds_write2_b32 v78, v22, v12 offset1:1
	v_pk_add_f16 v12, v10, v19
	v_pk_add_f16 v10, v10, v19 neg_lo:[0,1] neg_hi:[0,1]
	v_bfi_b32 v3, s14, v3, v18
	v_pk_fma_f16 v12, v12, 0.5, v13 op_sel_hi:[1,0,1] neg_lo:[1,0,0] neg_hi:[1,0,0]
	v_pk_mul_f16 v10, v10, s4 op_sel_hi:[1,0]
	ds_write_b32 v78, v3 offset:8
	v_mul_u32_u24_e32 v3, 3, v97
	v_pk_add_f16 v13, v12, v10 op_sel:[0,1] op_sel_hi:[1,0]
	v_pk_add_f16 v10, v12, v10 op_sel:[0,1] op_sel_hi:[1,0] neg_lo:[0,1] neg_hi:[0,1]
	v_lshl_add_u32 v79, v3, 2, v77
	v_pk_add_f16 v3, v23, v19
	v_bfi_b32 v12, s14, v13, v10
	ds_write2_b32 v79, v3, v12 offset1:1
	v_bfi_b32 v3, s14, v10, v13
	v_pk_add_f16 v24, v6, v11
	ds_write_b32 v79, v3 offset:8
	v_mul_u32_u24_e32 v3, 3, v96
	v_lshl_add_u32 v80, v3, 2, v77
	v_pk_add_f16 v3, v24, v8
	v_pk_add_f16 v10, v11, v8
	v_pk_add_f16 v8, v11, v8 neg_lo:[0,1] neg_hi:[0,1]
	v_pk_fma_f16 v6, v10, 0.5, v6 op_sel_hi:[1,0,1] neg_lo:[1,0,0] neg_hi:[1,0,0]
	v_pk_mul_f16 v8, v8, s4 op_sel_hi:[1,0]
	v_pk_add_f16 v10, v6, v8 op_sel:[0,1] op_sel_hi:[1,0]
	v_pk_add_f16 v6, v6, v8 op_sel:[0,1] op_sel_hi:[1,0] neg_lo:[0,1] neg_hi:[0,1]
	v_bfi_b32 v8, s14, v10, v6
	v_pk_add_f16 v26, v7, v4
	ds_write2_b32 v80, v3, v8 offset1:1
	v_bfi_b32 v3, s14, v6, v10
	v_pk_add_f16 v6, v4, v9
	v_pk_add_f16 v4, v4, v9 neg_lo:[0,1] neg_hi:[0,1]
	v_pk_fma_f16 v6, v6, 0.5, v7 op_sel_hi:[1,0,1] neg_lo:[1,0,0] neg_hi:[1,0,0]
	v_pk_mul_f16 v4, v4, s4 op_sel_hi:[1,0]
	ds_write_b32 v80, v3 offset:8
	v_mul_u32_u24_e32 v3, 3, v95
	v_pk_add_f16 v7, v6, v4 op_sel:[0,1] op_sel_hi:[1,0]
	v_pk_add_f16 v4, v6, v4 op_sel:[0,1] op_sel_hi:[1,0] neg_lo:[0,1] neg_hi:[0,1]
	v_lshl_add_u32 v81, v3, 2, v77
	v_pk_add_f16 v3, v26, v9
	v_bfi_b32 v6, s14, v7, v4
	ds_write2_b32 v81, v3, v6 offset1:1
	v_bfi_b32 v3, s14, v4, v7
	v_pk_add_f16 v4, v5, v21
	v_pk_add_f16 v27, v2, v5
	v_pk_fma_f16 v2, v4, 0.5, v2 op_sel_hi:[1,0,1] neg_lo:[1,0,0] neg_hi:[1,0,0]
	v_pk_add_f16 v4, v5, v21 neg_lo:[0,1] neg_hi:[0,1]
	v_pk_mul_f16 v4, v4, s4 op_sel_hi:[1,0]
	ds_write_b32 v81, v3 offset:8
	v_mul_u32_u24_e32 v3, 3, v94
	v_pk_add_f16 v5, v2, v4 op_sel:[0,1] op_sel_hi:[1,0]
	v_pk_add_f16 v2, v2, v4 op_sel:[0,1] op_sel_hi:[1,0] neg_lo:[0,1] neg_hi:[0,1]
	v_lshrrev_b32_e32 v49, 16, v25
	v_lshl_add_u32 v82, v3, 2, v77
	v_pk_add_f16 v3, v27, v21
	v_bfi_b32 v4, s14, v5, v2
	v_bfi_b32 v2, s14, v2, v5
	v_mul_u32_u24_e32 v83, 3, v92
	ds_write2_b32 v82, v3, v4 offset1:1
	ds_write_b32 v82, v2 offset:8
	s_and_saveexec_b64 s[4:5], s[0:1]
	s_cbranch_execz .LBB0_7
; %bb.6:
	v_pk_add_f16 v0, v1, v0
	v_lshl_add_u32 v2, v83, 2, v77
	v_pk_add_f16 v0, v14, v0
	ds_write_b32 v2, v0
	v_bfi_b32 v0, s14, v25, v48
	s_mov_b32 s14, 0x5040100
	v_perm_b32 v1, v49, v48, s14
	ds_write2_b32 v2, v0, v1 offset0:1 offset1:2
.LBB0_7:
	s_or_b64 exec, exec, s[4:5]
	s_movk_i32 s14, 0xab
	v_mul_lo_u16_sdwa v0, v75, s14 dst_sel:DWORD dst_unused:UNUSED_PAD src0_sel:BYTE_0 src1_sel:DWORD
	v_lshrrev_b16_e32 v36, 9, v0
	v_mul_lo_u16_e32 v0, 3, v36
	v_sub_u16_e32 v0, v75, v0
	v_and_b32_e32 v37, 0xff, v0
	v_mad_u64_u32 v[18:19], s[4:5], v37, 60, s[2:3]
	s_waitcnt lgkmcnt(0)
	; wave barrier
	s_waitcnt lgkmcnt(0)
	global_load_dwordx4 v[0:3], v[18:19], off
	global_load_dwordx4 v[4:7], v[18:19], off offset:16
	global_load_dwordx4 v[8:11], v[18:19], off offset:32
	global_load_dwordx3 v[12:14], v[18:19], off offset:48
	v_add_u32_e32 v40, 0x400, v59
	ds_read2_b32 v[18:19], v59 offset1:27
	ds_read2_b32 v[21:22], v59 offset0:54 offset1:81
	ds_read2_b32 v[23:24], v59 offset0:108 offset1:135
	;; [unrolled: 1-line block ×7, first 2 shown]
	s_waitcnt lgkmcnt(6)
	v_lshrrev_b32_e32 v38, 16, v21
	s_waitcnt lgkmcnt(5)
	v_lshrrev_b32_e32 v41, 16, v23
	;; [unrolled: 2-line block ×5, first 2 shown]
	v_lshrrev_b32_e32 v51, 16, v30
	v_lshrrev_b32_e32 v53, 16, v32
	;; [unrolled: 1-line block ×11, first 2 shown]
	s_mov_b32 s4, 0xb9a8
	s_movk_i32 s5, 0x39a8
	s_mov_b32 s15, 0xbb64
	s_mov_b32 s16, 0xb61f
	s_movk_i32 s17, 0x361f
	s_movk_i32 s18, 0x3b64
	v_mul_u32_u24_e32 v36, 48, v36
	v_or_b32_e32 v36, v36, v37
	s_waitcnt lgkmcnt(0)
	; wave barrier
	s_waitcnt vmcnt(3)
	v_mul_f16_sdwa v57, v38, v1 dst_sel:DWORD dst_unused:UNUSED_PAD src0_sel:DWORD src1_sel:WORD_1
	v_mul_f16_sdwa v58, v21, v1 dst_sel:DWORD dst_unused:UNUSED_PAD src0_sel:DWORD src1_sel:WORD_1
	v_fma_f16 v21, v21, v1, -v57
	s_waitcnt vmcnt(0)
	v_mul_f16_sdwa v116, v55, v13 dst_sel:DWORD dst_unused:UNUSED_PAD src0_sel:DWORD src1_sel:WORD_1
	v_fma_f16 v57, v34, v13, -v116
	v_mul_f16_sdwa v34, v34, v13 dst_sel:DWORD dst_unused:UNUSED_PAD src0_sel:DWORD src1_sel:WORD_1
	v_mul_f16_sdwa v88, v41, v3 dst_sel:DWORD dst_unused:UNUSED_PAD src0_sel:DWORD src1_sel:WORD_1
	;; [unrolled: 1-line block ×11, first 2 shown]
	v_fma_f16 v34, v55, v13, v34
	v_mul_f16_sdwa v55, v56, v14 dst_sel:DWORD dst_unused:UNUSED_PAD src0_sel:DWORD src1_sel:WORD_1
	v_fma_f16 v23, v23, v3, -v88
	v_fma_f16 v26, v26, v5, -v98
	;; [unrolled: 1-line block ×4, first 2 shown]
	v_fma_f16 v38, v38, v1, v58
	v_fma_f16 v41, v41, v3, v89
	v_fma_f16 v32, v32, v11, -v110
	v_fma_f16 v43, v43, v5, v99
	v_fma_f16 v45, v45, v7, v103
	;; [unrolled: 1-line block ×4, first 2 shown]
	v_fma_f16 v55, v35, v14, -v55
	v_mul_f16_sdwa v35, v35, v14 dst_sel:DWORD dst_unused:UNUSED_PAD src0_sel:DWORD src1_sel:WORD_1
	v_mul_f16_sdwa v84, v39, v2 dst_sel:DWORD dst_unused:UNUSED_PAD src0_sel:DWORD src1_sel:WORD_1
	;; [unrolled: 1-line block ×15, first 2 shown]
	v_fma_f16 v35, v56, v14, v35
	v_sub_f16_e32 v28, v18, v28
	v_sub_f16_e32 v45, v47, v45
	v_sub_f16_e32 v32, v23, v32
	v_sub_f16_e32 v53, v41, v53
	v_sub_f16_e32 v30, v21, v30
	v_sub_f16_e32 v51, v38, v51
	v_sub_f16_e32 v56, v26, v57
	v_sub_f16_e32 v34, v43, v34
	v_fma_f16 v22, v22, v2, -v84
	v_fma_f16 v24, v24, v4, -v90
	;; [unrolled: 1-line block ×5, first 2 shown]
	v_fma_f16 v39, v39, v2, v85
	v_fma_f16 v42, v42, v4, v91
	v_fma_f16 v33, v33, v12, -v112
	v_fma_f16 v44, v44, v6, v101
	v_fma_f16 v46, v46, v8, v105
	;; [unrolled: 1-line block ×4, first 2 shown]
	v_fma_f16 v19, v19, v0, -v115
	v_fma_f16 v54, v54, v12, v113
	v_fma_f16 v23, v23, 2.0, -v32
	v_fma_f16 v41, v41, 2.0, -v53
	;; [unrolled: 1-line block ×4, first 2 shown]
	v_sub_f16_e32 v53, v28, v53
	v_add_f16_e32 v32, v45, v32
	v_sub_f16_e32 v34, v30, v34
	v_add_f16_e32 v56, v51, v56
	v_fma_f16 v18, v18, 2.0, -v28
	v_fma_f16 v47, v47, 2.0, -v45
	;; [unrolled: 1-line block ×4, first 2 shown]
	v_sub_f16_e32 v29, v19, v29
	v_sub_f16_e32 v46, v50, v46
	;; [unrolled: 1-line block ×8, first 2 shown]
	v_fma_f16 v28, v28, 2.0, -v53
	v_fma_f16 v45, v45, 2.0, -v32
	;; [unrolled: 1-line block ×10, first 2 shown]
	v_sub_f16_e32 v54, v29, v54
	v_add_f16_e32 v33, v46, v33
	v_sub_f16_e32 v35, v31, v35
	v_add_f16_e32 v55, v52, v55
	v_fma_f16 v57, v30, s4, v28
	v_fma_f16 v58, v51, s4, v45
	v_fma_f16 v19, v19, 2.0, -v29
	v_fma_f16 v22, v22, 2.0, -v31
	v_sub_f16_e32 v41, v47, v41
	v_sub_f16_e32 v43, v38, v43
	;; [unrolled: 1-line block ×3, first 2 shown]
	v_fma_f16 v29, v29, 2.0, -v54
	v_fma_f16 v46, v46, 2.0, -v33
	v_sub_f16_e32 v44, v39, v44
	v_fma_f16 v31, v31, 2.0, -v35
	v_fma_f16 v52, v52, 2.0, -v55
	v_fma_f16 v51, v51, s4, v57
	v_fma_f16 v30, v30, s5, v58
	;; [unrolled: 1-line block ×4, first 2 shown]
	v_fma_f16 v47, v47, 2.0, -v41
	v_fma_f16 v38, v38, 2.0, -v43
	;; [unrolled: 1-line block ×4, first 2 shown]
	v_fma_f16 v56, v56, s4, v57
	v_fma_f16 v34, v34, s5, v58
	;; [unrolled: 1-line block ×4, first 2 shown]
	v_sub_f16_e32 v23, v18, v23
	v_sub_f16_e32 v26, v21, v26
	;; [unrolled: 1-line block ×6, first 2 shown]
	v_fma_f16 v52, v52, s4, v57
	v_fma_f16 v31, v31, s5, v58
	v_fma_f16 v21, v21, 2.0, -v26
	v_fma_f16 v22, v22, 2.0, -v27
	;; [unrolled: 1-line block ×5, first 2 shown]
	v_sub_f16_e32 v43, v23, v43
	v_add_f16_e32 v26, v41, v26
	v_fma_f16 v50, v50, 2.0, -v39
	v_fma_f16 v29, v29, 2.0, -v52
	;; [unrolled: 1-line block ×3, first 2 shown]
	v_sub_f16_e32 v44, v24, v44
	v_add_f16_e32 v27, v42, v27
	v_fma_f16 v57, v35, s5, v54
	v_fma_f16 v58, v55, s5, v33
	v_fma_f16 v18, v18, 2.0, -v23
	v_fma_f16 v19, v19, 2.0, -v24
	;; [unrolled: 1-line block ×6, first 2 shown]
	v_fma_f16 v55, v55, s4, v57
	v_fma_f16 v35, v35, s5, v58
	v_sub_f16_e32 v57, v47, v50
	v_fma_f16 v50, v29, s15, v28
	v_fma_f16 v58, v46, s15, v45
	v_sub_f16_e32 v21, v18, v21
	v_fma_f16 v53, v53, 2.0, -v56
	v_fma_f16 v32, v32, 2.0, -v34
	v_sub_f16_e32 v22, v19, v22
	v_fma_f16 v54, v54, 2.0, -v55
	v_fma_f16 v33, v33, 2.0, -v35
	v_fma_f16 v46, v46, s16, v50
	v_fma_f16 v29, v29, s17, v58
	;; [unrolled: 1-line block ×4, first 2 shown]
	v_fma_f16 v18, v18, 2.0, -v21
	v_fma_f16 v19, v19, 2.0, -v22
	v_fma_f16 v42, v42, s4, v50
	v_fma_f16 v58, v24, s5, v58
	;; [unrolled: 1-line block ×4, first 2 shown]
	v_sub_f16_e32 v19, v18, v19
	v_fma_f16 v33, v33, s15, v24
	v_fma_f16 v54, v54, s18, v50
	;; [unrolled: 1-line block ×4, first 2 shown]
	v_fma_f16 v18, v18, 2.0, -v19
	v_fma_f16 v47, v47, 2.0, -v57
	;; [unrolled: 1-line block ×4, first 2 shown]
	v_fma_f16 v31, v31, s15, v24
	v_fma_f16 v52, v52, s18, v50
	;; [unrolled: 1-line block ×4, first 2 shown]
	v_fma_f16 v23, v23, 2.0, -v42
	v_fma_f16 v41, v41, 2.0, -v58
	;; [unrolled: 1-line block ×4, first 2 shown]
	v_sub_f16_e32 v39, v21, v39
	v_add_f16_e32 v22, v38, v22
	v_fma_f16 v27, v27, s4, v24
	v_fma_f16 v44, v44, s5, v50
	;; [unrolled: 1-line block ×4, first 2 shown]
	v_lshl_add_u32 v85, v36, 2, v77
	v_pack_b32_f16 v18, v18, v47
	v_pack_b32_f16 v28, v28, v45
	v_fma_f16 v21, v21, 2.0, -v39
	v_fma_f16 v38, v38, 2.0, -v22
	;; [unrolled: 1-line block ×4, first 2 shown]
	v_fma_f16 v24, v35, s16, v24
	v_fma_f16 v50, v55, s17, v50
	ds_write2_b32 v85, v18, v28 offset1:3
	v_pack_b32_f16 v18, v23, v41
	v_pack_b32_f16 v23, v53, v32
	v_fma_f16 v43, v43, 2.0, -v27
	v_fma_f16 v26, v26, 2.0, -v44
	;; [unrolled: 1-line block ×4, first 2 shown]
	ds_write2_b32 v85, v18, v23 offset0:6 offset1:9
	v_pack_b32_f16 v18, v21, v38
	v_pack_b32_f16 v21, v51, v30
	ds_write2_b32 v85, v18, v21 offset0:12 offset1:15
	v_pack_b32_f16 v18, v43, v26
	v_pack_b32_f16 v21, v35, v34
	ds_write2_b32 v85, v18, v21 offset0:18 offset1:21
	v_pack_b32_f16 v18, v19, v57
	v_pack_b32_f16 v19, v46, v29
	ds_write2_b32 v85, v18, v19 offset0:24 offset1:27
	v_pack_b32_f16 v18, v42, v58
	v_pack_b32_f16 v19, v33, v54
	ds_write2_b32 v85, v18, v19 offset0:30 offset1:33
	v_pack_b32_f16 v18, v39, v22
	v_pack_b32_f16 v19, v31, v52
	ds_write2_b32 v85, v18, v19 offset0:36 offset1:39
	v_pack_b32_f16 v18, v27, v44
	v_pack_b32_f16 v19, v24, v50
	ds_write2_b32 v85, v18, v19 offset0:42 offset1:45
	s_waitcnt lgkmcnt(0)
	; wave barrier
	s_waitcnt lgkmcnt(0)
	ds_read2_b32 v[38:39], v59 offset1:27
	ds_read2_b32 v[32:33], v59 offset0:108 offset1:144
	ds_read2_b32 v[44:45], v40 offset0:32 offset1:59
	;; [unrolled: 1-line block ×6, first 2 shown]
	ds_read_b32 v51, v59 offset:1584
	v_lshrrev_b32_e32 v52, 16, v48
	s_and_saveexec_b64 s[4:5], s[0:1]
	s_cbranch_execz .LBB0_9
; %bb.8:
	v_add_u32_e32 v18, 0x200, v59
	ds_read2_b32 v[24:25], v18 offset0:7 offset1:151
	ds_read_b32 v48, v59 offset:1692
	s_waitcnt lgkmcnt(1)
	v_lshrrev_b32_e32 v50, 16, v24
	v_lshrrev_b32_e32 v52, 16, v25
	s_waitcnt lgkmcnt(0)
	v_lshrrev_b32_e32 v49, 16, v48
.LBB0_9:
	s_or_b64 exec, exec, s[4:5]
	s_movk_i32 s4, 0xffeb
	v_add_co_u32_e32 v21, vcc, s4, v75
	v_mul_lo_u16_sdwa v28, v94, s14 dst_sel:DWORD dst_unused:UNUSED_PAD src0_sel:BYTE_0 src1_sel:DWORD
	v_addc_co_u32_e64 v22, s[4:5], 0, -1, vcc
	v_cmp_gt_u16_e32 vcc, 21, v75
	v_lshrrev_b16_e32 v28, 13, v28
	v_cndmask_b32_e32 v54, v22, v20, vcc
	v_cndmask_b32_e32 v53, v21, v97, vcc
	v_mul_lo_u16_sdwa v23, v95, s14 dst_sel:DWORD dst_unused:UNUSED_PAD src0_sel:BYTE_0 src1_sel:DWORD
	v_mul_lo_u16_e32 v28, 48, v28
	v_lshlrev_b64 v[20:21], 3, v[53:54]
	v_lshrrev_b16_e32 v55, 13, v23
	v_sub_u16_e32 v28, v94, v28
	v_add_u32_e32 v54, 6, v75
	v_mul_lo_u16_e32 v23, 48, v55
	v_and_b32_e32 v57, 0xff, v28
	v_lshlrev_b32_e32 v34, 3, v75
	v_mov_b32_e32 v35, s3
	v_add_co_u32_e32 v20, vcc, s2, v20
	v_lshlrev_b32_e32 v22, 3, v54
	v_sub_u16_e32 v56, v95, v23
	v_mov_b32_e32 v30, 3
	v_lshlrev_b32_e32 v28, 3, v57
	global_load_dwordx2 v[18:19], v34, s[2:3] offset:180
	v_addc_co_u32_e32 v21, vcc, v35, v21, vcc
	global_load_dwordx2 v[28:29], v28, s[2:3] offset:180
	v_mul_lo_u16_sdwa v31, v92, s14 dst_sel:DWORD dst_unused:UNUSED_PAD src0_sel:BYTE_0 src1_sel:DWORD
	global_load_dwordx2 v[26:27], v22, s[2:3] offset:180
	v_lshlrev_b32_sdwa v22, v30, v56 dst_sel:DWORD dst_unused:UNUSED_PAD src0_sel:DWORD src1_sel:BYTE_0
	global_load_dwordx2 v[20:21], v[20:21], off offset:180
	v_lshrrev_b16_e32 v31, 13, v31
	global_load_dwordx2 v[22:23], v22, s[2:3] offset:180
	v_mul_lo_u16_e32 v31, 48, v31
	v_sub_u16_e32 v84, v92, v31
	v_lshlrev_b32_sdwa v30, v30, v84 dst_sel:DWORD dst_unused:UNUSED_PAD src0_sel:DWORD src1_sel:BYTE_0
	global_load_dwordx2 v[30:31], v30, s[2:3] offset:180
	s_waitcnt lgkmcnt(6)
	v_lshrrev_b32_e32 v88, 16, v33
	s_waitcnt lgkmcnt(4)
	v_lshrrev_b32_e32 v91, 16, v46
	;; [unrolled: 2-line block ×5, first 2 shown]
	v_lshrrev_b32_e32 v89, 16, v44
	v_lshrrev_b32_e32 v98, 16, v45
	v_lshrrev_b32_e32 v58, 16, v38
	s_movk_i32 s4, 0x3aee
	s_mov_b32 s5, 0xbaee
	v_lshrrev_b32_e32 v90, 16, v39
	v_lshrrev_b32_e32 v100, 16, v47
	v_lshrrev_b32_e32 v101, 16, v42
	v_lshrrev_b32_e32 v99, 16, v36
	v_lshrrev_b32_e32 v103, 16, v40
	v_lshrrev_b32_e32 v102, 16, v37
	v_lshrrev_b32_e32 v105, 16, v32
	v_add_co_u32_e32 v34, vcc, s2, v34
	v_addc_co_u32_e32 v35, vcc, 0, v35, vcc
	s_waitcnt lgkmcnt(0)
	; wave barrier
	v_cmp_lt_u16_e32 vcc, 20, v75
	s_waitcnt vmcnt(5)
	v_mul_f16_sdwa v108, v88, v18 dst_sel:DWORD dst_unused:UNUSED_PAD src0_sel:DWORD src1_sel:WORD_1
	v_mul_f16_sdwa v109, v33, v18 dst_sel:DWORD dst_unused:UNUSED_PAD src0_sel:DWORD src1_sel:WORD_1
	v_fma_f16 v33, v33, v18, -v108
	v_fma_f16 v88, v88, v18, v109
	v_mul_f16_sdwa v110, v89, v19 dst_sel:DWORD dst_unused:UNUSED_PAD src0_sel:DWORD src1_sel:WORD_1
	v_mul_f16_sdwa v111, v44, v19 dst_sel:DWORD dst_unused:UNUSED_PAD src0_sel:DWORD src1_sel:WORD_1
	v_fma_f16 v44, v44, v19, -v110
	s_waitcnt vmcnt(2)
	v_mul_f16_sdwa v108, v91, v20 dst_sel:DWORD dst_unused:UNUSED_PAD src0_sel:DWORD src1_sel:WORD_1
	v_mul_f16_sdwa v109, v46, v20 dst_sel:DWORD dst_unused:UNUSED_PAD src0_sel:DWORD src1_sel:WORD_1
	s_waitcnt vmcnt(1)
	v_mul_f16_sdwa v118, v104, v23 dst_sel:DWORD dst_unused:UNUSED_PAD src0_sel:DWORD src1_sel:WORD_1
	v_fma_f16 v46, v46, v20, -v108
	v_fma_f16 v108, v43, v23, -v118
	v_mul_f16_sdwa v43, v43, v23 dst_sel:DWORD dst_unused:UNUSED_PAD src0_sel:DWORD src1_sel:WORD_1
	v_fma_f16 v43, v104, v23, v43
	v_mul_f16_sdwa v104, v106, v28 dst_sel:DWORD dst_unused:UNUSED_PAD src0_sel:DWORD src1_sel:WORD_1
	v_fma_f16 v104, v41, v28, -v104
	v_mul_f16_sdwa v41, v41, v28 dst_sel:DWORD dst_unused:UNUSED_PAD src0_sel:DWORD src1_sel:WORD_1
	v_fma_f16 v41, v106, v28, v41
	v_mul_f16_sdwa v106, v107, v29 dst_sel:DWORD dst_unused:UNUSED_PAD src0_sel:DWORD src1_sel:WORD_1
	v_fma_f16 v106, v51, v29, -v106
	v_mul_f16_sdwa v51, v51, v29 dst_sel:DWORD dst_unused:UNUSED_PAD src0_sel:DWORD src1_sel:WORD_1
	v_fma_f16 v51, v107, v29, v51
	s_waitcnt vmcnt(0)
	v_mul_f16_sdwa v107, v52, v30 dst_sel:DWORD dst_unused:UNUSED_PAD src0_sel:DWORD src1_sel:WORD_1
	v_fma_f16 v107, v25, v30, -v107
	v_mul_f16_sdwa v25, v25, v30 dst_sel:DWORD dst_unused:UNUSED_PAD src0_sel:DWORD src1_sel:WORD_1
	v_fma_f16 v25, v52, v30, v25
	v_mul_f16_sdwa v52, v49, v31 dst_sel:DWORD dst_unused:UNUSED_PAD src0_sel:DWORD src1_sel:WORD_1
	v_fma_f16 v89, v89, v19, v111
	v_fma_f16 v91, v91, v20, v109
	v_fma_f16 v52, v48, v31, -v52
	v_mul_f16_sdwa v48, v48, v31 dst_sel:DWORD dst_unused:UNUSED_PAD src0_sel:DWORD src1_sel:WORD_1
	v_add_f16_e32 v109, v33, v44
	v_mul_f16_sdwa v110, v98, v21 dst_sel:DWORD dst_unused:UNUSED_PAD src0_sel:DWORD src1_sel:WORD_1
	v_fma_f16 v48, v49, v31, v48
	v_add_f16_e32 v49, v38, v33
	v_fma_f16 v38, v109, -0.5, v38
	v_sub_f16_e32 v109, v88, v89
	v_mul_f16_sdwa v111, v45, v21 dst_sel:DWORD dst_unused:UNUSED_PAD src0_sel:DWORD src1_sel:WORD_1
	v_fma_f16 v45, v45, v21, -v110
	v_fma_f16 v110, v109, s4, v38
	v_fma_f16 v38, v109, s5, v38
	v_add_f16_e32 v109, v58, v88
	v_add_f16_e32 v88, v88, v89
	;; [unrolled: 1-line block ×3, first 2 shown]
	v_fma_f16 v58, v88, -0.5, v58
	v_sub_f16_e32 v33, v33, v44
	v_add_f16_e32 v44, v39, v46
	v_fma_f16 v98, v98, v21, v111
	v_fma_f16 v88, v33, s5, v58
	;; [unrolled: 1-line block ×3, first 2 shown]
	v_add_f16_e32 v58, v44, v45
	v_add_f16_e32 v44, v46, v45
	v_fma_f16 v39, v44, -0.5, v39
	v_sub_f16_e32 v44, v91, v98
	v_add_f16_e32 v109, v109, v89
	v_fma_f16 v89, v44, s4, v39
	v_fma_f16 v39, v44, s5, v39
	v_add_f16_e32 v44, v90, v91
	v_mul_f16_sdwa v112, v100, v26 dst_sel:DWORD dst_unused:UNUSED_PAD src0_sel:DWORD src1_sel:WORD_1
	v_add_f16_e32 v111, v44, v98
	v_add_f16_e32 v44, v91, v98
	v_mul_f16_sdwa v113, v47, v26 dst_sel:DWORD dst_unused:UNUSED_PAD src0_sel:DWORD src1_sel:WORD_1
	v_mul_f16_sdwa v114, v101, v27 dst_sel:DWORD dst_unused:UNUSED_PAD src0_sel:DWORD src1_sel:WORD_1
	v_fma_f16 v47, v47, v26, -v112
	v_fma_f16 v44, v44, -0.5, v90
	v_sub_f16_e32 v45, v46, v45
	v_mul_f16_sdwa v115, v42, v27 dst_sel:DWORD dst_unused:UNUSED_PAD src0_sel:DWORD src1_sel:WORD_1
	v_fma_f16 v42, v42, v27, -v114
	v_fma_f16 v46, v45, s5, v44
	v_fma_f16 v45, v45, s4, v44
	v_add_f16_e32 v44, v36, v47
	v_fma_f16 v100, v100, v26, v113
	v_fma_f16 v101, v101, v27, v115
	v_add_f16_e32 v90, v44, v42
	v_add_f16_e32 v44, v47, v42
	v_fma_f16 v36, v44, -0.5, v36
	v_sub_f16_e32 v44, v100, v101
	v_fma_f16 v91, v44, s4, v36
	v_fma_f16 v36, v44, s5, v36
	v_add_f16_e32 v44, v99, v100
	v_mul_f16_sdwa v116, v103, v22 dst_sel:DWORD dst_unused:UNUSED_PAD src0_sel:DWORD src1_sel:WORD_1
	v_add_f16_e32 v112, v44, v101
	v_add_f16_e32 v44, v100, v101
	v_mul_f16_sdwa v117, v40, v22 dst_sel:DWORD dst_unused:UNUSED_PAD src0_sel:DWORD src1_sel:WORD_1
	v_fma_f16 v40, v40, v22, -v116
	v_fma_f16 v44, v44, -0.5, v99
	v_sub_f16_e32 v42, v47, v42
	v_fma_f16 v47, v42, s5, v44
	v_fma_f16 v99, v42, s4, v44
	v_add_f16_e32 v42, v37, v40
	v_fma_f16 v103, v103, v22, v117
	v_add_f16_e32 v113, v42, v108
	v_add_f16_e32 v42, v40, v108
	v_fma_f16 v37, v42, -0.5, v37
	v_sub_f16_e32 v42, v103, v43
	v_fma_f16 v114, v42, s4, v37
	v_fma_f16 v37, v42, s5, v37
	v_add_f16_e32 v42, v102, v103
	v_add_f16_e32 v115, v42, v43
	v_add_f16_e32 v42, v103, v43
	v_fma_f16 v42, v42, -0.5, v102
	v_sub_f16_e32 v40, v40, v108
	v_fma_f16 v102, v40, s5, v42
	v_fma_f16 v40, v40, s4, v42
	v_add_f16_e32 v42, v32, v104
	;; [unrolled: 7-line block ×5, first 2 shown]
	v_add_f16_e32 v98, v24, v48
	v_add_f16_e32 v24, v25, v48
	v_fma_f16 v24, v24, -0.5, v50
	v_sub_f16_e32 v25, v107, v52
	v_fma_f16 v100, v25, s5, v24
	v_fma_f16 v101, v25, s4, v24
	v_pack_b32_f16 v24, v49, v109
	v_pack_b32_f16 v25, v110, v88
	ds_write2_b32 v59, v24, v25 offset1:48
	v_pack_b32_f16 v24, v38, v33
	ds_write_b32 v59, v24 offset:384
	v_mov_b32_e32 v24, 0x90
	v_cndmask_b32_e32 v24, 0, v24, vcc
	v_add_u32_e32 v24, v53, v24
	v_lshl_add_u32 v88, v24, 2, v77
	v_pack_b32_f16 v24, v58, v111
	v_pack_b32_f16 v25, v89, v46
	ds_write2_b32 v88, v24, v25 offset1:48
	v_pack_b32_f16 v24, v39, v45
	ds_write_b32 v88, v24 offset:384
	v_pack_b32_f16 v24, v90, v112
	ds_write_b32 v59, v24 offset:600
	v_lshl_add_u32 v89, v54, 2, v77
	v_pack_b32_f16 v24, v91, v47
	ds_write_b32 v89, v24 offset:768
	v_pack_b32_f16 v24, v36, v99
	ds_write_b32 v59, v24 offset:984
	v_mul_u32_u24_e32 v24, 0x90, v55
	v_add_u32_sdwa v24, v24, v56 dst_sel:DWORD dst_unused:UNUSED_PAD src0_sel:DWORD src1_sel:BYTE_0
	v_lshl_add_u32 v90, v24, 2, v77
	v_pack_b32_f16 v24, v113, v115
	v_pack_b32_f16 v25, v114, v102
	ds_write2_b32 v90, v24, v25 offset1:48
	v_pack_b32_f16 v24, v37, v40
	v_lshl_add_u32 v91, v57, 2, v77
	ds_write_b32 v90, v24 offset:384
	v_pack_b32_f16 v24, v103, v116
	v_pack_b32_f16 v25, v108, v51
	v_add_u32_e32 v33, 0x400, v91
	ds_write2_b32 v33, v24, v25 offset0:32 offset1:80
	v_pack_b32_f16 v24, v32, v41
	ds_write_b32 v91, v24 offset:1536
	s_and_saveexec_b64 s[4:5], s[0:1]
	s_cbranch_execz .LBB0_11
; %bb.10:
	v_and_b32_e32 v24, 0xff, v84
	v_lshl_add_u32 v24, v24, 2, v77
	s_mov_b32 s14, 0x5040100
	v_perm_b32 v25, v98, v43, s14
	v_perm_b32 v32, v100, v44, s14
	v_add_u32_e32 v33, 0x400, v24
	ds_write2_b32 v33, v25, v32 offset0:32 offset1:80
	v_perm_b32 v25, v101, v42, s14
	ds_write_b32 v24, v25 offset:1536
.LBB0_11:
	s_or_b64 exec, exec, s[4:5]
	v_add_u32_e32 v99, 0x400, v59
	s_waitcnt lgkmcnt(0)
	; wave barrier
	s_waitcnt lgkmcnt(0)
	ds_read2_b32 v[49:50], v59 offset1:27
	ds_read2_b32 v[45:46], v59 offset0:108 offset1:144
	ds_read2_b32 v[55:56], v99 offset0:32 offset1:59
	;; [unrolled: 1-line block ×6, first 2 shown]
	ds_read_b32 v102, v59 offset:1584
	s_and_saveexec_b64 s[4:5], s[0:1]
	s_cbranch_execz .LBB0_13
; %bb.12:
	v_add_u32_e32 v24, 0x200, v59
	ds_read2_b32 v[43:44], v24 offset0:7 offset1:151
	ds_read_b32 v42, v59 offset:1692
	s_waitcnt lgkmcnt(1)
	v_lshrrev_b32_e32 v98, 16, v43
	v_lshrrev_b32_e32 v100, 16, v44
	s_waitcnt lgkmcnt(0)
	v_lshrrev_b32_e32 v101, 16, v42
.LBB0_13:
	s_or_b64 exec, exec, s[4:5]
	v_lshlrev_b32_e32 v24, 3, v97
	global_load_dwordx2 v[32:33], v[34:35], off offset:564
	v_lshl_add_u32 v86, v87, 2, v86
	global_load_dwordx2 v[34:35], v24, s[2:3] offset:564
	v_lshlrev_b32_e32 v24, 3, v96
	global_load_dwordx2 v[36:37], v24, s[2:3] offset:564
	v_lshlrev_b32_e32 v24, 3, v95
	;; [unrolled: 2-line block ×3, first 2 shown]
	global_load_dwordx2 v[40:41], v24, s[2:3] offset:564
	v_add_co_u32_e32 v24, vcc, -9, v75
	v_addc_co_u32_e64 v25, s[4:5], 0, -1, vcc
	v_cndmask_b32_e64 v25, v25, v93, s[0:1]
	v_cndmask_b32_e64 v24, v24, v92, s[0:1]
	v_lshlrev_b64 v[24:25], 3, v[24:25]
	v_mov_b32_e32 v94, s3
	v_add_co_u32_e32 v24, vcc, s2, v24
	v_addc_co_u32_e32 v25, vcc, v94, v25, vcc
	global_load_dwordx2 v[24:25], v[24:25], off offset:564
	s_waitcnt lgkmcnt(6)
	v_lshrrev_b32_e32 v93, 16, v46
	s_waitcnt lgkmcnt(5)
	v_lshrrev_b32_e32 v94, 16, v55
	;; [unrolled: 2-line block ×3, first 2 shown]
	v_lshrrev_b32_e32 v97, 16, v56
	v_lshrrev_b32_e32 v104, 16, v58
	s_waitcnt lgkmcnt(2)
	v_lshrrev_b32_e32 v105, 16, v51
	s_waitcnt lgkmcnt(1)
	v_lshrrev_b32_e32 v107, 16, v53
	v_lshrrev_b32_e32 v108, 16, v52
	;; [unrolled: 1-line block ×3, first 2 shown]
	s_waitcnt lgkmcnt(0)
	v_lshrrev_b32_e32 v111, 16, v102
	v_lshrrev_b32_e32 v92, 16, v49
	s_movk_i32 s2, 0x3aee
	s_mov_b32 s3, 0xbaee
	v_lshrrev_b32_e32 v95, 16, v50
	v_lshrrev_b32_e32 v103, 16, v47
	;; [unrolled: 1-line block ×4, first 2 shown]
	s_waitcnt vmcnt(5)
	v_mul_f16_sdwa v87, v93, v32 dst_sel:DWORD dst_unused:UNUSED_PAD src0_sel:DWORD src1_sel:WORD_1
	v_mul_f16_sdwa v112, v46, v32 dst_sel:DWORD dst_unused:UNUSED_PAD src0_sel:DWORD src1_sel:WORD_1
	;; [unrolled: 1-line block ×4, first 2 shown]
	v_fma_f16 v46, v46, v32, -v87
	v_fma_f16 v87, v93, v32, v112
	v_fma_f16 v93, v94, v33, v114
	s_waitcnt vmcnt(4)
	v_mul_f16_sdwa v94, v96, v34 dst_sel:DWORD dst_unused:UNUSED_PAD src0_sel:DWORD src1_sel:WORD_1
	v_mul_f16_sdwa v112, v57, v34 dst_sel:DWORD dst_unused:UNUSED_PAD src0_sel:DWORD src1_sel:WORD_1
	;; [unrolled: 1-line block ×3, first 2 shown]
	v_fma_f16 v55, v55, v33, -v113
	v_mul_f16_sdwa v113, v97, v35 dst_sel:DWORD dst_unused:UNUSED_PAD src0_sel:DWORD src1_sel:WORD_1
	s_waitcnt vmcnt(3)
	v_mul_f16_sdwa v115, v104, v36 dst_sel:DWORD dst_unused:UNUSED_PAD src0_sel:DWORD src1_sel:WORD_1
	v_fma_f16 v57, v57, v34, -v94
	v_fma_f16 v94, v96, v34, v112
	v_fma_f16 v96, v97, v35, v114
	v_mul_f16_sdwa v116, v58, v36 dst_sel:DWORD dst_unused:UNUSED_PAD src0_sel:DWORD src1_sel:WORD_1
	v_mul_f16_sdwa v118, v51, v37 dst_sel:DWORD dst_unused:UNUSED_PAD src0_sel:DWORD src1_sel:WORD_1
	s_waitcnt vmcnt(2)
	v_mul_f16_sdwa v120, v53, v38 dst_sel:DWORD dst_unused:UNUSED_PAD src0_sel:DWORD src1_sel:WORD_1
	v_mul_f16_sdwa v122, v52, v39 dst_sel:DWORD dst_unused:UNUSED_PAD src0_sel:DWORD src1_sel:WORD_1
	s_waitcnt vmcnt(1)
	v_mul_f16_sdwa v124, v54, v40 dst_sel:DWORD dst_unused:UNUSED_PAD src0_sel:DWORD src1_sel:WORD_1
	s_waitcnt vmcnt(0)
	v_mul_f16_sdwa v112, v100, v24 dst_sel:DWORD dst_unused:UNUSED_PAD src0_sel:DWORD src1_sel:WORD_1
	v_mul_f16_sdwa v114, v101, v25 dst_sel:DWORD dst_unused:UNUSED_PAD src0_sel:DWORD src1_sel:WORD_1
	;; [unrolled: 1-line block ×3, first 2 shown]
	v_fma_f16 v56, v56, v35, -v113
	v_fma_f16 v58, v58, v36, -v115
	v_mul_f16_sdwa v113, v44, v24 dst_sel:DWORD dst_unused:UNUSED_PAD src0_sel:DWORD src1_sel:WORD_1
	v_mul_f16_sdwa v115, v42, v25 dst_sel:DWORD dst_unused:UNUSED_PAD src0_sel:DWORD src1_sel:WORD_1
	v_fma_f16 v44, v44, v24, -v112
	v_fma_f16 v112, v42, v25, -v114
	v_add_f16_e32 v42, v46, v55
	v_mul_f16_sdwa v117, v105, v37 dst_sel:DWORD dst_unused:UNUSED_PAD src0_sel:DWORD src1_sel:WORD_1
	v_mul_f16_sdwa v119, v107, v38 dst_sel:DWORD dst_unused:UNUSED_PAD src0_sel:DWORD src1_sel:WORD_1
	;; [unrolled: 1-line block ×5, first 2 shown]
	v_fma_f16 v97, v104, v36, v116
	v_fma_f16 v104, v105, v37, v118
	v_fma_f16 v105, v107, v38, v120
	v_fma_f16 v107, v108, v39, v122
	v_fma_f16 v108, v110, v40, v124
	v_fma_f16 v110, v111, v41, v126
	v_add_f16_e32 v111, v49, v46
	v_fma_f16 v42, v42, -0.5, v49
	v_sub_f16_e32 v49, v87, v93
	v_fma_f16 v100, v100, v24, v113
	v_fma_f16 v113, v49, s2, v42
	;; [unrolled: 1-line block ×3, first 2 shown]
	v_add_f16_e32 v42, v92, v87
	v_add_f16_e32 v114, v42, v93
	;; [unrolled: 1-line block ×3, first 2 shown]
	v_fma_f16 v42, v42, -0.5, v92
	v_sub_f16_e32 v46, v46, v55
	v_add_f16_e32 v111, v111, v55
	v_fma_f16 v55, v46, s3, v42
	v_fma_f16 v46, v46, s2, v42
	v_add_f16_e32 v42, v50, v57
	v_fma_f16 v101, v101, v25, v115
	v_add_f16_e32 v115, v42, v56
	v_add_f16_e32 v42, v57, v56
	v_fma_f16 v42, v42, -0.5, v50
	v_sub_f16_e32 v50, v94, v96
	v_fma_f16 v116, v50, s2, v42
	v_fma_f16 v50, v50, s3, v42
	v_add_f16_e32 v42, v95, v94
	v_fma_f16 v51, v51, v37, -v117
	v_add_f16_e32 v117, v42, v96
	v_add_f16_e32 v42, v94, v96
	v_fma_f16 v42, v42, -0.5, v95
	v_sub_f16_e32 v56, v57, v56
	v_fma_f16 v57, v56, s3, v42
	v_fma_f16 v56, v56, s2, v42
	v_add_f16_e32 v42, v47, v58
	v_add_f16_e32 v95, v42, v51
	;; [unrolled: 1-line block ×3, first 2 shown]
	v_fma_f16 v42, v42, -0.5, v47
	v_sub_f16_e32 v47, v97, v104
	v_fma_f16 v96, v47, s2, v42
	v_fma_f16 v47, v47, s3, v42
	v_add_f16_e32 v42, v103, v97
	v_add_f16_e32 v118, v42, v104
	v_add_f16_e32 v42, v97, v104
	v_fma_f16 v53, v53, v38, -v119
	v_fma_f16 v42, v42, -0.5, v103
	v_sub_f16_e32 v51, v58, v51
	v_fma_f16 v52, v52, v39, -v121
	v_fma_f16 v58, v51, s3, v42
	v_fma_f16 v51, v51, s2, v42
	v_add_f16_e32 v42, v48, v53
	v_add_f16_e32 v97, v42, v52
	;; [unrolled: 1-line block ×3, first 2 shown]
	v_fma_f16 v42, v42, -0.5, v48
	v_sub_f16_e32 v48, v105, v107
	v_fma_f16 v103, v48, s2, v42
	v_fma_f16 v48, v48, s3, v42
	v_add_f16_e32 v42, v106, v105
	v_add_f16_e32 v104, v42, v107
	;; [unrolled: 1-line block ×3, first 2 shown]
	v_fma_f16 v54, v54, v40, -v123
	v_fma_f16 v42, v42, -0.5, v106
	v_sub_f16_e32 v52, v53, v52
	v_fma_f16 v102, v102, v41, -v125
	v_fma_f16 v53, v52, s3, v42
	v_fma_f16 v52, v52, s2, v42
	v_add_f16_e32 v42, v45, v54
	v_add_f16_e32 v105, v42, v102
	;; [unrolled: 1-line block ×3, first 2 shown]
	v_fma_f16 v42, v42, -0.5, v45
	v_sub_f16_e32 v45, v108, v110
	v_fma_f16 v106, v45, s2, v42
	v_fma_f16 v45, v45, s3, v42
	v_add_f16_e32 v42, v109, v108
	v_add_f16_e32 v107, v42, v110
	;; [unrolled: 1-line block ×3, first 2 shown]
	v_fma_f16 v42, v42, -0.5, v109
	v_sub_f16_e32 v54, v54, v102
	v_add_f16_e32 v93, v100, v101
	v_fma_f16 v102, v54, s3, v42
	v_fma_f16 v54, v54, s2, v42
	v_add_f16_e32 v42, v43, v44
	v_add_f16_e32 v87, v44, v112
	v_fma_f16 v94, v93, -0.5, v98
	v_sub_f16_e32 v44, v44, v112
	v_pack_b32_f16 v46, v49, v46
	v_fma_f16 v93, v44, s3, v94
	v_fma_f16 v94, v44, s2, v94
	v_pack_b32_f16 v44, v111, v114
	v_pack_b32_f16 v55, v113, v55
	ds_write_b32 v59, v46 offset:1152
	v_pack_b32_f16 v46, v115, v117
	ds_write_b32 v59, v55 offset:576
	ds_write2_b32 v59, v44, v46 offset1:27
	v_pack_b32_f16 v44, v116, v57
	v_pack_b32_f16 v46, v50, v56
	v_pack_b32_f16 v50, v96, v58
	ds_write2_b32 v59, v44, v50 offset0:171 offset1:198
	v_pack_b32_f16 v44, v47, v51
	v_pack_b32_f16 v49, v95, v118
	ds_write2_b32 v99, v46, v44 offset0:59 offset1:86
	v_pack_b32_f16 v44, v97, v104
	ds_write2_b32 v59, v49, v44 offset0:54 offset1:81
	v_pack_b32_f16 v44, v103, v53
	v_fma_f16 v87, v87, -0.5, v43
	v_sub_f16_e32 v92, v100, v101
	ds_write_b32 v59, v44 offset:900
	v_pack_b32_f16 v44, v48, v52
	v_fma_f16 v43, v92, s2, v87
	v_fma_f16 v87, v92, s3, v87
	v_add_f16_e32 v92, v98, v100
	ds_write_b32 v59, v44 offset:1476
	v_pack_b32_f16 v44, v105, v107
	v_add_f16_e32 v42, v42, v112
	v_add_f16_e32 v92, v92, v101
	ds_write_b32 v59, v44 offset:432
	v_pack_b32_f16 v44, v106, v102
	v_pack_b32_f16 v45, v45, v54
	v_add_u32_e32 v46, 0x300, v86
	ds_write2_b32 v46, v44, v45 offset0:60 offset1:204
	s_and_saveexec_b64 s[2:3], s[0:1]
	s_cbranch_execz .LBB0_15
; %bb.14:
	s_mov_b32 s4, 0x5040100
	v_perm_b32 v44, v92, v42, s4
	v_perm_b32 v45, v93, v43, s4
	v_add_u32_e32 v46, 0x200, v59
	ds_write2_b32 v46, v44, v45 offset0:7 offset1:151
	v_perm_b32 v44, v94, v87, s4
	ds_write_b32 v59, v44 offset:1692
.LBB0_15:
	s_or_b64 exec, exec, s[2:3]
	s_waitcnt lgkmcnt(0)
	; wave barrier
	s_waitcnt lgkmcnt(0)
	global_load_dword v47, v[15:16], off offset:1728
	ds_read2_b32 v[45:46], v59 offset1:27
	s_add_u32 s2, s12, 0x6c0
	s_addc_u32 s3, s13, 0
	s_waitcnt lgkmcnt(0)
	v_lshrrev_b32_e32 v44, 16, v45
	s_waitcnt vmcnt(0)
	v_mul_f16_sdwa v48, v44, v47 dst_sel:DWORD dst_unused:UNUSED_PAD src0_sel:DWORD src1_sel:WORD_1
	v_fma_f16 v48, v45, v47, -v48
	v_mul_f16_sdwa v45, v45, v47 dst_sel:DWORD dst_unused:UNUSED_PAD src0_sel:DWORD src1_sel:WORD_1
	v_fma_f16 v44, v44, v47, v45
	v_lshlrev_b32_e32 v45, 2, v75
	global_load_dword v49, v45, s[2:3] offset:576
	global_load_dword v53, v45, s[2:3] offset:1152
	v_pack_b32_f16 v50, v48, v44
	ds_read2_b32 v[47:48], v59 offset0:108 offset1:144
	s_waitcnt lgkmcnt(0)
	v_lshrrev_b32_e32 v44, 16, v48
	s_waitcnt vmcnt(1)
	v_mul_f16_sdwa v51, v44, v49 dst_sel:DWORD dst_unused:UNUSED_PAD src0_sel:DWORD src1_sel:WORD_1
	v_fma_f16 v51, v48, v49, -v51
	v_mul_f16_sdwa v48, v48, v49 dst_sel:DWORD dst_unused:UNUSED_PAD src0_sel:DWORD src1_sel:WORD_1
	v_fma_f16 v44, v44, v49, v48
	v_pack_b32_f16 v52, v51, v44
	v_add_u32_e32 v44, 0x400, v59
	ds_read2_b32 v[48:49], v44 offset0:32 offset1:59
	s_waitcnt lgkmcnt(0)
	v_lshrrev_b32_e32 v51, 16, v48
	s_waitcnt vmcnt(0)
	v_mul_f16_sdwa v54, v51, v53 dst_sel:DWORD dst_unused:UNUSED_PAD src0_sel:DWORD src1_sel:WORD_1
	v_fma_f16 v54, v48, v53, -v54
	v_mul_f16_sdwa v48, v48, v53 dst_sel:DWORD dst_unused:UNUSED_PAD src0_sel:DWORD src1_sel:WORD_1
	v_fma_f16 v48, v51, v53, v48
	global_load_dword v53, v45, s[2:3] offset:108
	v_lshrrev_b32_e32 v51, 16, v46
	v_pack_b32_f16 v48, v54, v48
	s_waitcnt vmcnt(0)
	v_mul_f16_sdwa v54, v51, v53 dst_sel:DWORD dst_unused:UNUSED_PAD src0_sel:DWORD src1_sel:WORD_1
	v_fma_f16 v54, v46, v53, -v54
	v_mul_f16_sdwa v46, v46, v53 dst_sel:DWORD dst_unused:UNUSED_PAD src0_sel:DWORD src1_sel:WORD_1
	v_fma_f16 v46, v51, v53, v46
	global_load_dword v53, v45, s[2:3] offset:684
	v_pack_b32_f16 v46, v54, v46
	ds_write2_b32 v59, v50, v46 offset1:27
	ds_read2_b32 v[50:51], v59 offset0:171 offset1:198
	s_waitcnt lgkmcnt(0)
	v_lshrrev_b32_e32 v46, 16, v50
	s_waitcnt vmcnt(0)
	v_mul_f16_sdwa v54, v46, v53 dst_sel:DWORD dst_unused:UNUSED_PAD src0_sel:DWORD src1_sel:WORD_1
	v_fma_f16 v54, v50, v53, -v54
	v_mul_f16_sdwa v50, v50, v53 dst_sel:DWORD dst_unused:UNUSED_PAD src0_sel:DWORD src1_sel:WORD_1
	v_fma_f16 v46, v46, v53, v50
	global_load_dword v53, v45, s[2:3] offset:1260
	v_lshrrev_b32_e32 v50, 16, v49
	v_pack_b32_f16 v46, v54, v46
	s_waitcnt vmcnt(0)
	v_mul_f16_sdwa v54, v50, v53 dst_sel:DWORD dst_unused:UNUSED_PAD src0_sel:DWORD src1_sel:WORD_1
	v_fma_f16 v54, v49, v53, -v54
	v_mul_f16_sdwa v49, v49, v53 dst_sel:DWORD dst_unused:UNUSED_PAD src0_sel:DWORD src1_sel:WORD_1
	v_fma_f16 v49, v50, v53, v49
	global_load_dword v53, v45, s[2:3] offset:216
	v_pack_b32_f16 v49, v54, v49
	ds_write2_b32 v44, v48, v49 offset0:32 offset1:59
	ds_read2_b32 v[48:49], v59 offset0:54 offset1:81
	s_waitcnt lgkmcnt(0)
	v_lshrrev_b32_e32 v50, 16, v48
	s_waitcnt vmcnt(0)
	v_mul_f16_sdwa v54, v50, v53 dst_sel:DWORD dst_unused:UNUSED_PAD src0_sel:DWORD src1_sel:WORD_1
	v_fma_f16 v54, v48, v53, -v54
	v_mul_f16_sdwa v48, v48, v53 dst_sel:DWORD dst_unused:UNUSED_PAD src0_sel:DWORD src1_sel:WORD_1
	v_fma_f16 v48, v50, v53, v48
	global_load_dword v53, v45, s[2:3] offset:792
	v_lshrrev_b32_e32 v50, 16, v51
	v_pack_b32_f16 v48, v54, v48
	s_waitcnt vmcnt(0)
	v_mul_f16_sdwa v54, v50, v53 dst_sel:DWORD dst_unused:UNUSED_PAD src0_sel:DWORD src1_sel:WORD_1
	v_fma_f16 v54, v51, v53, -v54
	v_mul_f16_sdwa v51, v51, v53 dst_sel:DWORD dst_unused:UNUSED_PAD src0_sel:DWORD src1_sel:WORD_1
	v_fma_f16 v50, v50, v53, v51
	global_load_dword v53, v45, s[2:3] offset:1368
	v_pack_b32_f16 v50, v54, v50
	ds_write2_b32 v59, v46, v50 offset0:171 offset1:198
	;; [unrolled: 19-line block ×3, first 2 shown]
	ds_read2_b32 v[48:49], v59 offset0:225 offset1:252
	s_waitcnt lgkmcnt(0)
	v_lshrrev_b32_e32 v50, 16, v48
	s_waitcnt vmcnt(0)
	v_mul_f16_sdwa v54, v50, v53 dst_sel:DWORD dst_unused:UNUSED_PAD src0_sel:DWORD src1_sel:WORD_1
	v_fma_f16 v54, v48, v53, -v54
	v_mul_f16_sdwa v48, v48, v53 dst_sel:DWORD dst_unused:UNUSED_PAD src0_sel:DWORD src1_sel:WORD_1
	v_fma_f16 v48, v50, v53, v48
	global_load_dword v53, v45, s[2:3] offset:1476
	v_lshrrev_b32_e32 v50, 16, v51
	v_pack_b32_f16 v48, v54, v48
	s_waitcnt vmcnt(0)
	v_mul_f16_sdwa v54, v50, v53 dst_sel:DWORD dst_unused:UNUSED_PAD src0_sel:DWORD src1_sel:WORD_1
	v_fma_f16 v54, v51, v53, -v54
	v_mul_f16_sdwa v51, v51, v53 dst_sel:DWORD dst_unused:UNUSED_PAD src0_sel:DWORD src1_sel:WORD_1
	v_fma_f16 v50, v50, v53, v51
	v_pack_b32_f16 v50, v54, v50
	ds_write2_b32 v44, v46, v50 offset0:86 offset1:113
	global_load_dword v50, v45, s[2:3] offset:432
	v_lshrrev_b32_e32 v46, 16, v47
	s_waitcnt vmcnt(0)
	v_mul_f16_sdwa v51, v46, v50 dst_sel:DWORD dst_unused:UNUSED_PAD src0_sel:DWORD src1_sel:WORD_1
	v_fma_f16 v51, v47, v50, -v51
	v_mul_f16_sdwa v47, v47, v50 dst_sel:DWORD dst_unused:UNUSED_PAD src0_sel:DWORD src1_sel:WORD_1
	v_fma_f16 v46, v46, v50, v47
	global_load_dword v47, v45, s[2:3] offset:1008
	v_pack_b32_f16 v46, v51, v46
	ds_write2_b32 v59, v46, v52 offset0:108 offset1:144
	v_lshrrev_b32_e32 v46, 16, v49
	s_waitcnt vmcnt(0)
	v_mul_f16_sdwa v50, v46, v47 dst_sel:DWORD dst_unused:UNUSED_PAD src0_sel:DWORD src1_sel:WORD_1
	v_fma_f16 v50, v49, v47, -v50
	v_mul_f16_sdwa v49, v49, v47 dst_sel:DWORD dst_unused:UNUSED_PAD src0_sel:DWORD src1_sel:WORD_1
	v_fma_f16 v46, v46, v47, v49
	v_pack_b32_f16 v46, v50, v46
	ds_write2_b32 v59, v48, v46 offset0:225 offset1:252
	global_load_dword v48, v45, s[2:3] offset:1584
	ds_read_b32 v46, v59 offset:1584
	s_waitcnt lgkmcnt(0)
	v_lshrrev_b32_e32 v47, 16, v46
	s_waitcnt vmcnt(0)
	v_mul_f16_sdwa v49, v47, v48 dst_sel:DWORD dst_unused:UNUSED_PAD src0_sel:DWORD src1_sel:WORD_1
	v_fma_f16 v49, v46, v48, -v49
	v_mul_f16_sdwa v46, v46, v48 dst_sel:DWORD dst_unused:UNUSED_PAD src0_sel:DWORD src1_sel:WORD_1
	v_fma_f16 v46, v47, v48, v46
	v_pack_b32_f16 v46, v49, v46
	ds_write_b32 v59, v46 offset:1584
	s_and_saveexec_b64 s[4:5], s[0:1]
	s_cbranch_execz .LBB0_17
; %bb.16:
	v_mov_b32_e32 v46, s3
	v_add_co_u32_e32 v45, vcc, s2, v45
	v_addc_co_u32_e32 v46, vcc, 0, v46, vcc
	global_load_dword v47, v[45:46], off offset:540
	global_load_dword v48, v[45:46], off offset:1116
	;; [unrolled: 1-line block ×3, first 2 shown]
	v_add_u32_e32 v50, 0x200, v59
	ds_read_b32 v51, v59 offset:1692
	ds_read2_b32 v[45:46], v50 offset0:7 offset1:151
	s_waitcnt lgkmcnt(1)
	v_lshrrev_b32_e32 v52, 16, v51
	s_waitcnt lgkmcnt(0)
	v_lshrrev_b32_e32 v53, 16, v45
	v_lshrrev_b32_e32 v54, 16, v46
	s_waitcnt vmcnt(2)
	v_mul_f16_sdwa v55, v53, v47 dst_sel:DWORD dst_unused:UNUSED_PAD src0_sel:DWORD src1_sel:WORD_1
	v_mul_f16_sdwa v56, v45, v47 dst_sel:DWORD dst_unused:UNUSED_PAD src0_sel:DWORD src1_sel:WORD_1
	s_waitcnt vmcnt(1)
	v_mul_f16_sdwa v57, v54, v48 dst_sel:DWORD dst_unused:UNUSED_PAD src0_sel:DWORD src1_sel:WORD_1
	v_mul_f16_sdwa v58, v46, v48 dst_sel:DWORD dst_unused:UNUSED_PAD src0_sel:DWORD src1_sel:WORD_1
	s_waitcnt vmcnt(0)
	v_mul_f16_sdwa v95, v52, v49 dst_sel:DWORD dst_unused:UNUSED_PAD src0_sel:DWORD src1_sel:WORD_1
	v_mul_f16_sdwa v96, v51, v49 dst_sel:DWORD dst_unused:UNUSED_PAD src0_sel:DWORD src1_sel:WORD_1
	v_fma_f16 v45, v45, v47, -v55
	v_fma_f16 v47, v53, v47, v56
	v_fma_f16 v46, v46, v48, -v57
	v_fma_f16 v48, v54, v48, v58
	;; [unrolled: 2-line block ×3, first 2 shown]
	v_pack_b32_f16 v45, v45, v47
	v_pack_b32_f16 v46, v46, v48
	;; [unrolled: 1-line block ×3, first 2 shown]
	ds_write2_b32 v50, v45, v46 offset0:7 offset1:151
	ds_write_b32 v59, v47 offset:1692
.LBB0_17:
	s_or_b64 exec, exec, s[4:5]
	s_waitcnt lgkmcnt(0)
	; wave barrier
	s_waitcnt lgkmcnt(0)
	ds_read2_b32 v[55:56], v59 offset1:27
	ds_read2_b32 v[45:46], v59 offset0:108 offset1:144
	ds_read2_b32 v[57:58], v44 offset0:32 offset1:59
	;; [unrolled: 1-line block ×6, first 2 shown]
	ds_read_b32 v98, v59 offset:1584
	s_and_saveexec_b64 s[2:3], s[0:1]
	s_cbranch_execz .LBB0_19
; %bb.18:
	v_add_u32_e32 v42, 0x200, v59
	ds_read2_b32 v[42:43], v42 offset0:7 offset1:151
	ds_read_b32 v87, v59 offset:1692
	s_waitcnt lgkmcnt(1)
	v_lshrrev_b32_e32 v92, 16, v42
	v_lshrrev_b32_e32 v93, 16, v43
	s_waitcnt lgkmcnt(0)
	v_lshrrev_b32_e32 v94, 16, v87
.LBB0_19:
	s_or_b64 exec, exec, s[2:3]
	v_add_f16_e32 v44, v43, v87
	v_fma_f16 v95, v44, -0.5, v42
	v_sub_f16_e32 v96, v93, v94
	s_mov_b32 s2, 0xbaee
	s_movk_i32 s3, 0x3aee
	v_fma_f16 v44, v96, s2, v95
	v_fma_f16 v95, v96, s3, v95
	v_add_f16_e32 v96, v93, v94
	v_fma_f16 v96, v96, -0.5, v92
	v_sub_f16_e32 v104, v43, v87
	s_waitcnt lgkmcnt(6)
	v_pk_add_f16 v99, v55, v46
	v_fma_f16 v97, v104, s3, v96
	v_fma_f16 v96, v104, s2, v96
	s_waitcnt lgkmcnt(5)
	v_pk_add_f16 v104, v46, v57
	v_pk_add_f16 v46, v46, v57 neg_lo:[0,1] neg_hi:[0,1]
	v_pk_fma_f16 v55, v104, 0.5, v55 op_sel_hi:[1,0,1] neg_lo:[1,0,0] neg_hi:[1,0,0]
	v_pk_mul_f16 v46, v46, s3 op_sel_hi:[1,0]
	v_pk_add_f16 v99, v99, v57
	v_pk_add_f16 v57, v55, v46 op_sel:[0,1] op_sel_hi:[1,0] neg_lo:[0,1] neg_hi:[0,1]
	v_pk_add_f16 v46, v55, v46 op_sel:[0,1] op_sel_hi:[1,0]
	s_mov_b32 s2, 0xffff
	v_bfi_b32 v55, s2, v57, v46
	s_waitcnt lgkmcnt(4)
	v_pk_add_f16 v100, v56, v53
	s_waitcnt lgkmcnt(0)
	; wave barrier
	s_waitcnt lgkmcnt(0)
	ds_write2_b32 v78, v99, v55 offset1:1
	v_pk_add_f16 v55, v53, v58
	v_pk_add_f16 v53, v53, v58 neg_lo:[0,1] neg_hi:[0,1]
	v_pk_fma_f16 v55, v55, 0.5, v56 op_sel_hi:[1,0,1] neg_lo:[1,0,0] neg_hi:[1,0,0]
	v_pk_mul_f16 v53, v53, s3 op_sel_hi:[1,0]
	v_bfi_b32 v46, s2, v46, v57
	v_pk_add_f16 v56, v55, v53 op_sel:[0,1] op_sel_hi:[1,0] neg_lo:[0,1] neg_hi:[0,1]
	v_pk_add_f16 v53, v55, v53 op_sel:[0,1] op_sel_hi:[1,0]
	ds_write_b32 v78, v46 offset:8
	v_pk_add_f16 v46, v100, v58
	v_bfi_b32 v55, s2, v56, v53
	v_pk_add_f16 v101, v49, v54
	ds_write2_b32 v79, v46, v55 offset1:1
	v_bfi_b32 v46, s2, v53, v56
	ds_write_b32 v79, v46 offset:8
	v_pk_add_f16 v46, v101, v51
	v_pk_add_f16 v53, v54, v51
	v_pk_add_f16 v51, v54, v51 neg_lo:[0,1] neg_hi:[0,1]
	v_pk_fma_f16 v49, v53, 0.5, v49 op_sel_hi:[1,0,1] neg_lo:[1,0,0] neg_hi:[1,0,0]
	v_pk_mul_f16 v51, v51, s3 op_sel_hi:[1,0]
	v_pk_add_f16 v53, v49, v51 op_sel:[0,1] op_sel_hi:[1,0] neg_lo:[0,1] neg_hi:[0,1]
	v_pk_add_f16 v49, v49, v51 op_sel:[0,1] op_sel_hi:[1,0]
	v_bfi_b32 v51, s2, v53, v49
	v_pk_add_f16 v102, v50, v47
	ds_write2_b32 v80, v46, v51 offset1:1
	v_bfi_b32 v46, s2, v49, v53
	v_pk_add_f16 v49, v47, v52
	v_pk_add_f16 v47, v47, v52 neg_lo:[0,1] neg_hi:[0,1]
	v_pk_fma_f16 v49, v49, 0.5, v50 op_sel_hi:[1,0,1] neg_lo:[1,0,0] neg_hi:[1,0,0]
	v_pk_mul_f16 v47, v47, s3 op_sel_hi:[1,0]
	v_pk_add_f16 v50, v49, v47 op_sel:[0,1] op_sel_hi:[1,0] neg_lo:[0,1] neg_hi:[0,1]
	v_pk_add_f16 v47, v49, v47 op_sel:[0,1] op_sel_hi:[1,0]
	ds_write_b32 v80, v46 offset:8
	v_pk_add_f16 v46, v102, v52
	v_bfi_b32 v49, s2, v50, v47
	ds_write2_b32 v81, v46, v49 offset1:1
	v_bfi_b32 v46, s2, v47, v50
	v_pk_add_f16 v47, v48, v98
	v_pk_add_f16 v103, v45, v48
	v_pk_fma_f16 v45, v47, 0.5, v45 op_sel_hi:[1,0,1] neg_lo:[1,0,0] neg_hi:[1,0,0]
	v_pk_add_f16 v47, v48, v98 neg_lo:[0,1] neg_hi:[0,1]
	v_pk_mul_f16 v47, v47, s3 op_sel_hi:[1,0]
	v_pk_add_f16 v48, v45, v47 op_sel:[0,1] op_sel_hi:[1,0] neg_lo:[0,1] neg_hi:[0,1]
	v_pk_add_f16 v45, v45, v47 op_sel:[0,1] op_sel_hi:[1,0]
	ds_write_b32 v81, v46 offset:8
	v_pk_add_f16 v46, v103, v98
	v_bfi_b32 v47, s2, v48, v45
	v_bfi_b32 v45, s2, v45, v48
	ds_write2_b32 v82, v46, v47 offset1:1
	ds_write_b32 v82, v45 offset:8
	s_and_saveexec_b64 s[2:3], s[0:1]
	s_cbranch_execz .LBB0_21
; %bb.20:
	v_add_f16_e32 v45, v93, v92
	v_add_f16_e32 v42, v43, v42
	;; [unrolled: 1-line block ×4, first 2 shown]
	s_mov_b32 s4, 0x5040100
	v_lshl_add_u32 v43, v83, 2, v77
	v_perm_b32 v46, v97, v44, s4
	v_pack_b32_f16 v42, v42, v45
	ds_write2_b32 v43, v42, v46 offset1:1
	v_perm_b32 v42, v96, v95, s4
	ds_write_b32 v43, v42 offset:8
.LBB0_21:
	s_or_b64 exec, exec, s[2:3]
	s_waitcnt lgkmcnt(0)
	; wave barrier
	s_waitcnt lgkmcnt(0)
	ds_read2_b32 v[42:43], v59 offset1:27
	ds_read2_b32 v[45:46], v59 offset0:54 offset1:81
	ds_read2_b32 v[47:48], v59 offset0:108 offset1:135
	;; [unrolled: 1-line block ×4, first 2 shown]
	s_waitcnt lgkmcnt(4)
	v_lshrrev_b32_e32 v79, 16, v43
	v_mul_f16_sdwa v105, v0, v79 dst_sel:DWORD dst_unused:UNUSED_PAD src0_sel:WORD_1 src1_sel:DWORD
	s_waitcnt lgkmcnt(3)
	v_lshrrev_b32_e32 v80, 16, v45
	v_fma_f16 v105, v0, v43, v105
	v_mul_f16_sdwa v43, v0, v43 dst_sel:DWORD dst_unused:UNUSED_PAD src0_sel:WORD_1 src1_sel:DWORD
	v_fma_f16 v0, v0, v79, -v43
	v_mul_f16_sdwa v43, v1, v80 dst_sel:DWORD dst_unused:UNUSED_PAD src0_sel:WORD_1 src1_sel:DWORD
	v_lshrrev_b32_e32 v81, 16, v46
	v_fma_f16 v43, v1, v45, v43
	v_mul_f16_sdwa v45, v1, v45 dst_sel:DWORD dst_unused:UNUSED_PAD src0_sel:WORD_1 src1_sel:DWORD
	v_fma_f16 v1, v1, v80, -v45
	v_mul_f16_sdwa v45, v2, v81 dst_sel:DWORD dst_unused:UNUSED_PAD src0_sel:WORD_1 src1_sel:DWORD
	s_waitcnt lgkmcnt(2)
	v_lshrrev_b32_e32 v82, 16, v47
	v_fma_f16 v45, v2, v46, v45
	v_mul_f16_sdwa v46, v2, v46 dst_sel:DWORD dst_unused:UNUSED_PAD src0_sel:WORD_1 src1_sel:DWORD
	v_fma_f16 v2, v2, v81, -v46
	v_mul_f16_sdwa v46, v3, v82 dst_sel:DWORD dst_unused:UNUSED_PAD src0_sel:WORD_1 src1_sel:DWORD
	v_lshrrev_b32_e32 v83, 16, v48
	v_fma_f16 v46, v3, v47, v46
	v_mul_f16_sdwa v47, v3, v47 dst_sel:DWORD dst_unused:UNUSED_PAD src0_sel:WORD_1 src1_sel:DWORD
	v_fma_f16 v3, v3, v82, -v47
	v_mul_f16_sdwa v47, v4, v83 dst_sel:DWORD dst_unused:UNUSED_PAD src0_sel:WORD_1 src1_sel:DWORD
	s_waitcnt lgkmcnt(1)
	v_lshrrev_b32_e32 v87, 16, v49
	v_fma_f16 v47, v4, v48, v47
	v_mul_f16_sdwa v48, v4, v48 dst_sel:DWORD dst_unused:UNUSED_PAD src0_sel:WORD_1 src1_sel:DWORD
	v_fma_f16 v4, v4, v83, -v48
	v_mul_f16_sdwa v48, v5, v87 dst_sel:DWORD dst_unused:UNUSED_PAD src0_sel:WORD_1 src1_sel:DWORD
	v_lshrrev_b32_e32 v92, 16, v50
	v_add_u32_e32 v93, 0x400, v59
	v_fma_f16 v48, v5, v49, v48
	v_mul_f16_sdwa v49, v5, v49 dst_sel:DWORD dst_unused:UNUSED_PAD src0_sel:WORD_1 src1_sel:DWORD
	ds_read2_b32 v[53:54], v93 offset0:14 offset1:41
	v_fma_f16 v5, v5, v87, -v49
	v_mul_f16_sdwa v49, v6, v92 dst_sel:DWORD dst_unused:UNUSED_PAD src0_sel:WORD_1 src1_sel:DWORD
	s_waitcnt lgkmcnt(1)
	v_lshrrev_b32_e32 v94, 16, v51
	v_fma_f16 v49, v6, v50, v49
	v_mul_f16_sdwa v50, v6, v50 dst_sel:DWORD dst_unused:UNUSED_PAD src0_sel:WORD_1 src1_sel:DWORD
	v_fma_f16 v6, v6, v92, -v50
	v_mul_f16_sdwa v50, v7, v94 dst_sel:DWORD dst_unused:UNUSED_PAD src0_sel:WORD_1 src1_sel:DWORD
	v_lshrrev_b32_e32 v98, 16, v52
	v_fma_f16 v50, v7, v51, v50
	v_mul_f16_sdwa v51, v7, v51 dst_sel:DWORD dst_unused:UNUSED_PAD src0_sel:WORD_1 src1_sel:DWORD
	ds_read2_b32 v[55:56], v93 offset0:68 offset1:95
	v_fma_f16 v7, v7, v94, -v51
	v_mul_f16_sdwa v51, v8, v98 dst_sel:DWORD dst_unused:UNUSED_PAD src0_sel:WORD_1 src1_sel:DWORD
	s_waitcnt lgkmcnt(1)
	v_lshrrev_b32_e32 v99, 16, v53
	v_fma_f16 v51, v8, v52, v51
	v_mul_f16_sdwa v52, v8, v52 dst_sel:DWORD dst_unused:UNUSED_PAD src0_sel:WORD_1 src1_sel:DWORD
	v_fma_f16 v8, v8, v98, -v52
	v_mul_f16_sdwa v52, v9, v99 dst_sel:DWORD dst_unused:UNUSED_PAD src0_sel:WORD_1 src1_sel:DWORD
	v_lshrrev_b32_e32 v100, 16, v54
	;; [unrolled: 12-line block ×3, first 2 shown]
	v_fma_f16 v54, v11, v55, v54
	v_mul_f16_sdwa v55, v11, v55 dst_sel:DWORD dst_unused:UNUSED_PAD src0_sel:WORD_1 src1_sel:DWORD
	v_fma_f16 v11, v11, v101, -v55
	v_mul_f16_sdwa v55, v12, v102 dst_sel:DWORD dst_unused:UNUSED_PAD src0_sel:WORD_1 src1_sel:DWORD
	s_waitcnt lgkmcnt(0)
	v_lshrrev_b32_e32 v103, 16, v57
	v_fma_f16 v55, v12, v56, v55
	v_mul_f16_sdwa v56, v12, v56 dst_sel:DWORD dst_unused:UNUSED_PAD src0_sel:WORD_1 src1_sel:DWORD
	v_fma_f16 v12, v12, v102, -v56
	v_mul_f16_sdwa v56, v13, v103 dst_sel:DWORD dst_unused:UNUSED_PAD src0_sel:WORD_1 src1_sel:DWORD
	v_lshrrev_b32_e32 v104, 16, v58
	v_fma_f16 v56, v13, v57, v56
	v_mul_f16_sdwa v57, v13, v57 dst_sel:DWORD dst_unused:UNUSED_PAD src0_sel:WORD_1 src1_sel:DWORD
	v_fma_f16 v13, v13, v103, -v57
	v_mul_f16_sdwa v57, v14, v104 dst_sel:DWORD dst_unused:UNUSED_PAD src0_sel:WORD_1 src1_sel:DWORD
	v_lshrrev_b32_e32 v78, 16, v42
	v_fma_f16 v57, v14, v58, v57
	v_mul_f16_sdwa v58, v14, v58 dst_sel:DWORD dst_unused:UNUSED_PAD src0_sel:WORD_1 src1_sel:DWORD
	v_sub_f16_e32 v50, v42, v50
	v_sub_f16_e32 v11, v3, v11
	;; [unrolled: 1-line block ×4, first 2 shown]
	v_fma_f16 v14, v14, v104, -v58
	v_sub_f16_e32 v7, v78, v7
	v_sub_f16_e32 v54, v46, v54
	v_fma_f16 v3, v3, 2.0, -v11
	v_sub_f16_e32 v9, v1, v9
	v_sub_f16_e32 v56, v48, v56
	v_fma_f16 v5, v5, 2.0, -v13
	v_sub_f16_e32 v51, v105, v51
	v_sub_f16_e32 v55, v47, v55
	;; [unrolled: 1-line block ×4, first 2 shown]
	v_add_f16_e32 v11, v50, v11
	v_add_f16_e32 v13, v52, v13
	v_fma_f16 v42, v42, 2.0, -v50
	v_fma_f16 v58, v78, 2.0, -v7
	;; [unrolled: 1-line block ×6, first 2 shown]
	v_sub_f16_e32 v12, v4, v12
	v_fma_f16 v47, v47, 2.0, -v55
	v_fma_f16 v45, v45, 2.0, -v53
	v_sub_f16_e32 v14, v6, v14
	v_fma_f16 v49, v49, 2.0, -v57
	v_sub_f16_e32 v54, v7, v54
	v_fma_f16 v50, v50, 2.0, -v11
	v_sub_f16_e32 v56, v9, v56
	v_fma_f16 v52, v52, 2.0, -v13
	s_mov_b32 s2, 0xb9a8
	v_fma_f16 v1, v1, 2.0, -v9
	v_sub_f16_e32 v8, v0, v8
	v_fma_f16 v4, v4, 2.0, -v12
	v_sub_f16_e32 v10, v2, v10
	v_fma_f16 v6, v6, 2.0, -v14
	v_sub_f16_e32 v46, v42, v46
	v_fma_f16 v7, v7, 2.0, -v54
	v_sub_f16_e32 v48, v43, v48
	v_fma_f16 v9, v9, 2.0, -v56
	v_sub_f16_e32 v47, v78, v47
	v_add_f16_e32 v12, v51, v12
	v_sub_f16_e32 v49, v45, v49
	v_add_f16_e32 v14, v53, v14
	v_fma_f16 v79, v52, s2, v50
	s_movk_i32 s3, 0x39a8
	v_fma_f16 v42, v42, 2.0, -v46
	v_fma_f16 v43, v43, 2.0, -v48
	;; [unrolled: 1-line block ×3, first 2 shown]
	v_sub_f16_e32 v55, v8, v55
	v_fma_f16 v51, v51, 2.0, -v12
	v_fma_f16 v45, v45, 2.0, -v49
	v_sub_f16_e32 v57, v10, v57
	v_fma_f16 v53, v53, 2.0, -v14
	v_fma_f16 v80, v9, s2, v7
	v_fma_f16 v9, v9, s3, v79
	;; [unrolled: 1-line block ×3, first 2 shown]
	v_fma_f16 v0, v0, 2.0, -v8
	v_fma_f16 v2, v2, 2.0, -v10
	;; [unrolled: 1-line block ×4, first 2 shown]
	v_sub_f16_e32 v43, v42, v43
	v_fma_f16 v52, v52, s2, v80
	v_fma_f16 v80, v56, s3, v54
	;; [unrolled: 1-line block ×3, first 2 shown]
	v_sub_f16_e32 v45, v78, v45
	v_fma_f16 v79, v53, s2, v51
	v_sub_f16_e32 v5, v1, v5
	v_sub_f16_e32 v6, v2, v6
	v_fma_f16 v42, v42, 2.0, -v43
	v_fma_f16 v13, v13, s2, v80
	v_fma_f16 v78, v78, 2.0, -v45
	v_fma_f16 v80, v10, s2, v8
	v_fma_f16 v10, v10, s3, v79
	v_sub_f16_e32 v3, v58, v3
	v_fma_f16 v1, v1, 2.0, -v5
	v_sub_f16_e32 v4, v0, v4
	v_fma_f16 v2, v2, 2.0, -v6
	v_fma_f16 v50, v50, 2.0, -v9
	v_add_f16_e32 v5, v46, v5
	v_fma_f16 v53, v53, s2, v80
	v_fma_f16 v51, v51, 2.0, -v10
	v_add_f16_e32 v6, v47, v6
	v_fma_f16 v79, v14, s3, v12
	v_sub_f16_e32 v78, v42, v78
	s_mov_b32 s4, 0xbb64
	v_fma_f16 v7, v7, 2.0, -v52
	v_sub_f16_e32 v48, v3, v48
	v_fma_f16 v46, v46, 2.0, -v5
	v_fma_f16 v8, v8, 2.0, -v53
	v_sub_f16_e32 v49, v4, v49
	v_fma_f16 v47, v47, 2.0, -v6
	v_fma_f16 v80, v57, s3, v55
	v_fma_f16 v57, v57, s3, v79
	v_fma_f16 v79, v42, 2.0, -v78
	v_fma_f16 v42, v51, s4, v50
	s_movk_i32 s5, 0x361f
	v_fma_f16 v58, v58, 2.0, -v3
	v_fma_f16 v0, v0, 2.0, -v4
	;; [unrolled: 1-line block ×5, first 2 shown]
	v_fma_f16 v14, v14, s2, v80
	v_fma_f16 v12, v12, 2.0, -v57
	v_fma_f16 v80, v8, s4, v7
	v_fma_f16 v8, v8, s5, v42
	s_mov_b32 s12, 0xb61f
	v_fma_f16 v42, v47, s2, v46
	v_fma_f16 v54, v54, 2.0, -v13
	v_sub_f16_e32 v2, v0, v2
	v_fma_f16 v55, v55, 2.0, -v14
	v_fma_f16 v51, v51, s12, v80
	v_fma_f16 v80, v4, s2, v3
	;; [unrolled: 1-line block ×4, first 2 shown]
	s_movk_i32 s13, 0x3b64
	v_sub_f16_e32 v1, v58, v1
	v_fma_f16 v0, v0, 2.0, -v2
	v_fma_f16 v47, v47, s2, v80
	v_fma_f16 v80, v55, s12, v54
	;; [unrolled: 1-line block ×3, first 2 shown]
	v_add_f16_e32 v2, v43, v2
	v_fma_f16 v42, v10, s5, v9
	v_fma_f16 v58, v58, 2.0, -v1
	v_fma_f16 v12, v12, s4, v80
	v_fma_f16 v80, v43, 2.0, -v2
	v_fma_f16 v43, v53, s5, v52
	v_fma_f16 v53, v53, s13, v42
	v_fma_f16 v42, v6, s3, v5
	v_sub_f16_e32 v0, v58, v0
	v_fma_f16 v10, v10, s4, v43
	v_fma_f16 v43, v49, s3, v48
	;; [unrolled: 1-line block ×4, first 2 shown]
	v_fma_f16 v58, v58, 2.0, -v0
	v_fma_f16 v50, v50, 2.0, -v8
	;; [unrolled: 1-line block ×3, first 2 shown]
	v_fma_f16 v6, v6, s2, v43
	v_fma_f16 v43, v14, s5, v42
	v_fma_f16 v46, v46, 2.0, -v4
	v_fma_f16 v3, v3, 2.0, -v47
	v_fma_f16 v11, v11, 2.0, -v55
	v_fma_f16 v54, v54, 2.0, -v12
	v_sub_f16_e32 v45, v1, v45
	v_fma_f16 v81, v14, s13, v13
	v_fma_f16 v14, v56, 2.0, -v43
	v_pack_b32_f16 v56, v79, v58
	v_pack_b32_f16 v7, v50, v7
	v_fma_f16 v1, v1, 2.0, -v45
	v_fma_f16 v9, v9, 2.0, -v53
	;; [unrolled: 1-line block ×3, first 2 shown]
	v_fma_f16 v42, v57, s12, v81
	s_waitcnt lgkmcnt(0)
	; wave barrier
	ds_write2_b32 v85, v56, v7 offset1:3
	v_pack_b32_f16 v3, v46, v3
	v_pack_b32_f16 v7, v11, v54
	v_fma_f16 v5, v5, 2.0, -v49
	v_fma_f16 v48, v48, 2.0, -v6
	;; [unrolled: 1-line block ×3, first 2 shown]
	ds_write2_b32 v85, v3, v7 offset0:6 offset1:9
	v_pack_b32_f16 v1, v80, v1
	v_pack_b32_f16 v3, v9, v52
	ds_write2_b32 v85, v1, v3 offset0:12 offset1:15
	v_pack_b32_f16 v1, v5, v48
	v_pack_b32_f16 v3, v14, v13
	;; [unrolled: 3-line block ×6, first 2 shown]
	ds_write2_b32 v85, v0, v1 offset0:42 offset1:45
	s_waitcnt lgkmcnt(0)
	; wave barrier
	s_waitcnt lgkmcnt(0)
	ds_read2_b32 v[4:5], v59 offset1:27
	ds_read2_b32 v[0:1], v59 offset0:108 offset1:144
	ds_read2_b32 v[12:13], v93 offset0:32 offset1:59
	ds_read2_b32 v[10:11], v59 offset0:171 offset1:198
	ds_read2_b32 v[2:3], v59 offset0:54 offset1:81
	ds_read2_b32 v[8:9], v93 offset0:86 offset1:113
	ds_read2_b32 v[6:7], v59 offset0:225 offset1:252
	ds_read_b32 v14, v59 offset:1584
	s_and_saveexec_b64 s[2:3], s[0:1]
	s_cbranch_execz .LBB0_23
; %bb.22:
	v_add_u32_e32 v42, 0x200, v59
	ds_read2_b32 v[43:44], v42 offset0:7 offset1:151
	ds_read_b32 v95, v59 offset:1692
	s_waitcnt lgkmcnt(1)
	v_lshrrev_b32_e32 v42, 16, v43
	v_lshrrev_b32_e32 v97, 16, v44
	s_waitcnt lgkmcnt(0)
	v_lshrrev_b32_e32 v96, 16, v95
.LBB0_23:
	s_or_b64 exec, exec, s[2:3]
	s_waitcnt lgkmcnt(6)
	v_lshrrev_b32_e32 v46, 16, v1
	v_mul_f16_sdwa v79, v18, v46 dst_sel:DWORD dst_unused:UNUSED_PAD src0_sel:WORD_1 src1_sel:DWORD
	s_waitcnt lgkmcnt(5)
	v_lshrrev_b32_e32 v47, 16, v12
	v_fma_f16 v79, v18, v1, v79
	v_mul_f16_sdwa v1, v18, v1 dst_sel:DWORD dst_unused:UNUSED_PAD src0_sel:WORD_1 src1_sel:DWORD
	v_fma_f16 v1, v18, v46, -v1
	v_mul_f16_sdwa v18, v19, v47 dst_sel:DWORD dst_unused:UNUSED_PAD src0_sel:WORD_1 src1_sel:DWORD
	s_waitcnt lgkmcnt(4)
	v_lshrrev_b32_e32 v49, 16, v10
	v_fma_f16 v18, v19, v12, v18
	v_mul_f16_sdwa v12, v19, v12 dst_sel:DWORD dst_unused:UNUSED_PAD src0_sel:WORD_1 src1_sel:DWORD
	v_fma_f16 v12, v19, v47, -v12
	v_mul_f16_sdwa v19, v20, v49 dst_sel:DWORD dst_unused:UNUSED_PAD src0_sel:WORD_1 src1_sel:DWORD
	v_lshrrev_b32_e32 v50, 16, v13
	v_fma_f16 v19, v20, v10, v19
	v_mul_f16_sdwa v10, v20, v10 dst_sel:DWORD dst_unused:UNUSED_PAD src0_sel:WORD_1 src1_sel:DWORD
	v_fma_f16 v10, v20, v49, -v10
	v_mul_f16_sdwa v20, v21, v50 dst_sel:DWORD dst_unused:UNUSED_PAD src0_sel:WORD_1 src1_sel:DWORD
	;; [unrolled: 5-line block ×3, first 2 shown]
	s_waitcnt lgkmcnt(2)
	v_lshrrev_b32_e32 v53, 16, v8
	v_fma_f16 v21, v26, v11, v21
	v_mul_f16_sdwa v11, v26, v11 dst_sel:DWORD dst_unused:UNUSED_PAD src0_sel:WORD_1 src1_sel:DWORD
	v_fma_f16 v11, v26, v52, -v11
	v_mul_f16_sdwa v26, v27, v53 dst_sel:DWORD dst_unused:UNUSED_PAD src0_sel:WORD_1 src1_sel:DWORD
	s_waitcnt lgkmcnt(1)
	v_lshrrev_b32_e32 v55, 16, v6
	v_fma_f16 v26, v27, v8, v26
	v_mul_f16_sdwa v8, v27, v8 dst_sel:DWORD dst_unused:UNUSED_PAD src0_sel:WORD_1 src1_sel:DWORD
	v_fma_f16 v8, v27, v53, -v8
	v_mul_f16_sdwa v27, v22, v55 dst_sel:DWORD dst_unused:UNUSED_PAD src0_sel:WORD_1 src1_sel:DWORD
	v_lshrrev_b32_e32 v56, 16, v9
	v_fma_f16 v27, v22, v6, v27
	v_mul_f16_sdwa v6, v22, v6 dst_sel:DWORD dst_unused:UNUSED_PAD src0_sel:WORD_1 src1_sel:DWORD
	v_fma_f16 v6, v22, v55, -v6
	v_mul_f16_sdwa v22, v23, v56 dst_sel:DWORD dst_unused:UNUSED_PAD src0_sel:WORD_1 src1_sel:DWORD
	;; [unrolled: 5-line block ×3, first 2 shown]
	s_waitcnt lgkmcnt(0)
	v_lshrrev_b32_e32 v78, 16, v14
	v_fma_f16 v23, v28, v7, v23
	v_mul_f16_sdwa v7, v28, v7 dst_sel:DWORD dst_unused:UNUSED_PAD src0_sel:WORD_1 src1_sel:DWORD
	v_fma_f16 v7, v28, v58, -v7
	v_mul_f16_sdwa v28, v29, v78 dst_sel:DWORD dst_unused:UNUSED_PAD src0_sel:WORD_1 src1_sel:DWORD
	v_fma_f16 v28, v29, v14, v28
	v_mul_f16_sdwa v14, v29, v14 dst_sel:DWORD dst_unused:UNUSED_PAD src0_sel:WORD_1 src1_sel:DWORD
	v_fma_f16 v14, v29, v78, -v14
	v_mul_f16_sdwa v29, v30, v97 dst_sel:DWORD dst_unused:UNUSED_PAD src0_sel:WORD_1 src1_sel:DWORD
	;; [unrolled: 4-line block ×3, first 2 shown]
	v_mul_f16_sdwa v46, v31, v95 dst_sel:DWORD dst_unused:UNUSED_PAD src0_sel:WORD_1 src1_sel:DWORD
	v_add_f16_e32 v47, v79, v18
	v_lshrrev_b32_e32 v45, 16, v4
	v_fma_f16 v44, v31, v95, v44
	v_fma_f16 v31, v31, v96, -v46
	v_add_f16_e32 v46, v4, v79
	v_fma_f16 v4, v47, -0.5, v4
	v_sub_f16_e32 v47, v1, v12
	s_mov_b32 s2, 0xbaee
	s_movk_i32 s3, 0x3aee
	v_fma_f16 v49, v47, s2, v4
	v_fma_f16 v4, v47, s3, v4
	v_add_f16_e32 v47, v45, v1
	v_add_f16_e32 v1, v1, v12
	;; [unrolled: 1-line block ×3, first 2 shown]
	v_fma_f16 v1, v1, -0.5, v45
	v_sub_f16_e32 v12, v79, v18
	v_add_f16_e32 v46, v46, v18
	v_fma_f16 v18, v12, s3, v1
	v_fma_f16 v12, v12, s2, v1
	v_add_f16_e32 v1, v5, v19
	v_add_f16_e32 v45, v1, v20
	v_add_f16_e32 v1, v19, v20
	v_lshrrev_b32_e32 v48, 16, v5
	v_fma_f16 v1, v1, -0.5, v5
	v_sub_f16_e32 v5, v10, v13
	v_fma_f16 v50, v5, s2, v1
	v_fma_f16 v5, v5, s3, v1
	v_add_f16_e32 v1, v48, v10
	v_add_f16_e32 v52, v1, v13
	v_add_f16_e32 v1, v10, v13
	v_fma_f16 v1, v1, -0.5, v48
	v_sub_f16_e32 v10, v19, v20
	v_fma_f16 v13, v10, s3, v1
	v_fma_f16 v10, v10, s2, v1
	v_add_f16_e32 v1, v2, v21
	v_add_f16_e32 v19, v1, v26
	v_add_f16_e32 v1, v21, v26
	v_lshrrev_b32_e32 v51, 16, v2
	v_fma_f16 v1, v1, -0.5, v2
	v_sub_f16_e32 v2, v11, v8
	v_fma_f16 v48, v2, s2, v1
	v_fma_f16 v2, v2, s3, v1
	v_add_f16_e32 v1, v51, v11
	v_add_f16_e32 v53, v1, v8
	v_add_f16_e32 v1, v11, v8
	v_fma_f16 v1, v1, -0.5, v51
	v_sub_f16_e32 v8, v21, v26
	;; [unrolled: 15-line block ×3, first 2 shown]
	v_fma_f16 v9, v6, s3, v1
	v_fma_f16 v6, v6, s2, v1
	v_add_f16_e32 v1, v0, v23
	v_add_f16_e32 v27, v1, v28
	v_add_f16_e32 v1, v23, v28
	v_lshrrev_b32_e32 v57, 16, v0
	v_fma_f16 v0, v1, -0.5, v0
	v_sub_f16_e32 v1, v7, v14
	v_add_f16_e32 v21, v30, v31
	v_fma_f16 v54, v1, s2, v0
	v_fma_f16 v56, v1, s3, v0
	v_sub_f16_e32 v1, v23, v28
	v_fma_f16 v22, v21, -0.5, v42
	v_sub_f16_e32 v28, v29, v44
	v_pack_b32_f16 v4, v4, v12
	v_fma_f16 v21, v28, s3, v22
	v_fma_f16 v22, v28, s2, v22
	s_waitcnt lgkmcnt(0)
	; wave barrier
	v_pack_b32_f16 v28, v46, v47
	v_pack_b32_f16 v18, v49, v18
	ds_write_b32 v59, v4 offset:384
	v_pack_b32_f16 v4, v45, v52
	v_pack_b32_f16 v12, v50, v13
	v_add_f16_e32 v0, v57, v7
	ds_write2_b32 v59, v28, v18 offset1:48
	ds_write2_b32 v88, v4, v12 offset1:48
	v_pack_b32_f16 v4, v5, v10
	v_add_f16_e32 v58, v0, v14
	v_add_f16_e32 v0, v7, v14
	ds_write_b32 v88, v4 offset:384
	v_pack_b32_f16 v4, v19, v53
	v_fma_f16 v0, v0, -0.5, v57
	ds_write_b32 v59, v4 offset:600
	v_pack_b32_f16 v4, v48, v11
	v_pack_b32_f16 v2, v2, v8
	v_fma_f16 v7, v1, s3, v0
	v_fma_f16 v23, v1, s2, v0
	v_add_f16_e32 v1, v29, v44
	ds_write_b32 v89, v4 offset:768
	ds_write_b32 v59, v2 offset:984
	v_pack_b32_f16 v2, v26, v55
	v_pack_b32_f16 v4, v51, v9
	v_fma_f16 v14, v1, -0.5, v43
	v_sub_f16_e32 v20, v30, v31
	ds_write2_b32 v90, v2, v4 offset1:48
	v_pack_b32_f16 v2, v3, v6
	v_add_f16_e32 v0, v29, v43
	v_fma_f16 v1, v20, s2, v14
	v_fma_f16 v14, v20, s3, v14
	v_add_f16_e32 v20, v30, v42
	ds_write_b32 v90, v2 offset:384
	v_pack_b32_f16 v2, v27, v58
	v_pack_b32_f16 v3, v54, v7
	v_add_u32_e32 v4, 0x400, v91
	v_add_f16_e32 v0, v0, v44
	v_add_f16_e32 v20, v31, v20
	ds_write2_b32 v4, v2, v3 offset0:32 offset1:80
	v_pack_b32_f16 v2, v56, v23
	ds_write_b32 v91, v2 offset:1536
	s_and_saveexec_b64 s[2:3], s[0:1]
	s_cbranch_execz .LBB0_25
; %bb.24:
	v_and_b32_e32 v2, 0xff, v84
	v_lshl_add_u32 v2, v2, 2, v77
	s_mov_b32 s4, 0x5040100
	v_perm_b32 v3, v20, v0, s4
	v_perm_b32 v4, v21, v1, s4
	v_add_u32_e32 v5, 0x400, v2
	ds_write2_b32 v5, v3, v4 offset0:32 offset1:80
	v_perm_b32 v3, v22, v14, s4
	ds_write_b32 v2, v3 offset:1536
.LBB0_25:
	s_or_b64 exec, exec, s[2:3]
	v_add_u32_e32 v23, 0x400, v59
	s_waitcnt lgkmcnt(0)
	; wave barrier
	s_waitcnt lgkmcnt(0)
	ds_read2_b32 v[6:7], v59 offset1:27
	ds_read2_b32 v[2:3], v59 offset0:108 offset1:144
	ds_read2_b32 v[18:19], v23 offset0:32 offset1:59
	;; [unrolled: 1-line block ×6, first 2 shown]
	ds_read_b32 v27, v59 offset:1584
	v_add_u32_e32 v26, 0x1b0, v86
	s_and_saveexec_b64 s[2:3], s[0:1]
	s_cbranch_execz .LBB0_27
; %bb.26:
	v_add_u32_e32 v0, 0x200, v59
	ds_read2_b32 v[0:1], v0 offset0:7 offset1:151
	ds_read_b32 v14, v59 offset:1692
	s_waitcnt lgkmcnt(1)
	v_lshrrev_b32_e32 v20, 16, v0
	v_lshrrev_b32_e32 v21, 16, v1
	s_waitcnt lgkmcnt(0)
	v_lshrrev_b32_e32 v22, 16, v14
.LBB0_27:
	s_or_b64 exec, exec, s[2:3]
	s_waitcnt lgkmcnt(6)
	v_lshrrev_b32_e32 v29, 16, v3
	v_mul_f16_sdwa v53, v32, v29 dst_sel:DWORD dst_unused:UNUSED_PAD src0_sel:WORD_1 src1_sel:DWORD
	s_waitcnt lgkmcnt(5)
	v_lshrrev_b32_e32 v30, 16, v18
	v_fma_f16 v53, v32, v3, v53
	v_mul_f16_sdwa v3, v32, v3 dst_sel:DWORD dst_unused:UNUSED_PAD src0_sel:WORD_1 src1_sel:DWORD
	v_fma_f16 v3, v32, v29, -v3
	v_mul_f16_sdwa v29, v33, v30 dst_sel:DWORD dst_unused:UNUSED_PAD src0_sel:WORD_1 src1_sel:DWORD
	s_waitcnt lgkmcnt(4)
	v_lshrrev_b32_e32 v42, 16, v12
	v_fma_f16 v29, v33, v18, v29
	v_mul_f16_sdwa v18, v33, v18 dst_sel:DWORD dst_unused:UNUSED_PAD src0_sel:WORD_1 src1_sel:DWORD
	v_fma_f16 v18, v33, v30, -v18
	v_mul_f16_sdwa v30, v34, v42 dst_sel:DWORD dst_unused:UNUSED_PAD src0_sel:WORD_1 src1_sel:DWORD
	v_lshrrev_b32_e32 v43, 16, v19
	s_waitcnt lgkmcnt(2)
	v_lshrrev_b32_e32 v46, 16, v10
	v_fma_f16 v30, v34, v12, v30
	v_mul_f16_sdwa v12, v34, v12 dst_sel:DWORD dst_unused:UNUSED_PAD src0_sel:WORD_1 src1_sel:DWORD
	v_lshrrev_b32_e32 v45, 16, v13
	v_fma_f16 v12, v34, v42, -v12
	v_mul_f16_sdwa v32, v35, v43 dst_sel:DWORD dst_unused:UNUSED_PAD src0_sel:WORD_1 src1_sel:DWORD
	v_mul_f16_sdwa v34, v37, v46 dst_sel:DWORD dst_unused:UNUSED_PAD src0_sel:WORD_1 src1_sel:DWORD
	s_waitcnt lgkmcnt(1)
	v_lshrrev_b32_e32 v48, 16, v8
	v_lshrrev_b32_e32 v51, 16, v9
	v_fma_f16 v32, v35, v19, v32
	v_mul_f16_sdwa v19, v35, v19 dst_sel:DWORD dst_unused:UNUSED_PAD src0_sel:WORD_1 src1_sel:DWORD
	v_mul_f16_sdwa v33, v36, v45 dst_sel:DWORD dst_unused:UNUSED_PAD src0_sel:WORD_1 src1_sel:DWORD
	v_fma_f16 v34, v37, v10, v34
	v_mul_f16_sdwa v10, v37, v10 dst_sel:DWORD dst_unused:UNUSED_PAD src0_sel:WORD_1 src1_sel:DWORD
	v_lshrrev_b32_e32 v49, 16, v11
	v_fma_f16 v19, v35, v43, -v19
	v_fma_f16 v33, v36, v13, v33
	v_mul_f16_sdwa v13, v36, v13 dst_sel:DWORD dst_unused:UNUSED_PAD src0_sel:WORD_1 src1_sel:DWORD
	v_fma_f16 v10, v37, v46, -v10
	v_mul_f16_sdwa v35, v38, v48 dst_sel:DWORD dst_unused:UNUSED_PAD src0_sel:WORD_1 src1_sel:DWORD
	v_mul_f16_sdwa v37, v40, v51 dst_sel:DWORD dst_unused:UNUSED_PAD src0_sel:WORD_1 src1_sel:DWORD
	s_waitcnt lgkmcnt(0)
	v_lshrrev_b32_e32 v52, 16, v27
	v_fma_f16 v13, v36, v45, -v13
	v_fma_f16 v35, v38, v8, v35
	v_mul_f16_sdwa v8, v38, v8 dst_sel:DWORD dst_unused:UNUSED_PAD src0_sel:WORD_1 src1_sel:DWORD
	v_mul_f16_sdwa v36, v39, v49 dst_sel:DWORD dst_unused:UNUSED_PAD src0_sel:WORD_1 src1_sel:DWORD
	v_fma_f16 v37, v40, v9, v37
	v_mul_f16_sdwa v9, v40, v9 dst_sel:DWORD dst_unused:UNUSED_PAD src0_sel:WORD_1 src1_sel:DWORD
	v_fma_f16 v8, v38, v48, -v8
	v_fma_f16 v36, v39, v11, v36
	v_mul_f16_sdwa v11, v39, v11 dst_sel:DWORD dst_unused:UNUSED_PAD src0_sel:WORD_1 src1_sel:DWORD
	v_fma_f16 v9, v40, v51, -v9
	v_mul_f16_sdwa v38, v41, v52 dst_sel:DWORD dst_unused:UNUSED_PAD src0_sel:WORD_1 src1_sel:DWORD
	v_add_f16_e32 v40, v53, v29
	v_lshrrev_b32_e32 v28, 16, v6
	v_fma_f16 v11, v39, v49, -v11
	v_fma_f16 v38, v41, v27, v38
	v_mul_f16_sdwa v27, v41, v27 dst_sel:DWORD dst_unused:UNUSED_PAD src0_sel:WORD_1 src1_sel:DWORD
	v_add_f16_e32 v39, v6, v53
	v_fma_f16 v6, v40, -0.5, v6
	v_sub_f16_e32 v40, v3, v18
	s_mov_b32 s4, 0xbaee
	s_movk_i32 s5, 0x3aee
	v_fma_f16 v27, v41, v52, -v27
	v_fma_f16 v41, v40, s4, v6
	v_fma_f16 v6, v40, s5, v6
	v_add_f16_e32 v40, v28, v3
	v_add_f16_e32 v3, v3, v18
	;; [unrolled: 1-line block ×4, first 2 shown]
	v_fma_f16 v3, v3, -0.5, v28
	v_sub_f16_e32 v18, v53, v29
	v_add_f16_e32 v29, v30, v32
	v_lshrrev_b32_e32 v31, 16, v7
	v_fma_f16 v28, v18, s5, v3
	v_fma_f16 v3, v18, s4, v3
	v_add_f16_e32 v18, v7, v30
	v_fma_f16 v7, v29, -0.5, v7
	v_sub_f16_e32 v29, v12, v19
	v_fma_f16 v42, v29, s4, v7
	v_fma_f16 v7, v29, s5, v7
	v_add_f16_e32 v29, v31, v12
	v_add_f16_e32 v12, v12, v19
	;; [unrolled: 1-line block ×3, first 2 shown]
	v_fma_f16 v12, v12, -0.5, v31
	v_sub_f16_e32 v19, v30, v32
	v_add_f16_e32 v31, v33, v34
	v_lshrrev_b32_e32 v44, 16, v4
	v_fma_f16 v30, v19, s5, v12
	v_fma_f16 v12, v19, s4, v12
	v_add_f16_e32 v19, v4, v33
	v_fma_f16 v4, v31, -0.5, v4
	v_sub_f16_e32 v31, v13, v10
	v_add_f16_e32 v18, v18, v32
	v_fma_f16 v32, v31, s4, v4
	v_fma_f16 v4, v31, s5, v4
	v_add_f16_e32 v31, v44, v13
	v_add_f16_e32 v31, v31, v10
	v_add_f16_e32 v10, v13, v10
	v_add_f16_e32 v19, v19, v34
	v_fma_f16 v10, v10, -0.5, v44
	v_sub_f16_e32 v13, v33, v34
	v_add_f16_e32 v34, v35, v36
	v_lshrrev_b32_e32 v47, 16, v5
	v_fma_f16 v33, v13, s5, v10
	v_fma_f16 v10, v13, s4, v10
	v_add_f16_e32 v13, v5, v35
	v_fma_f16 v5, v34, -0.5, v5
	v_sub_f16_e32 v34, v8, v11
	v_fma_f16 v43, v34, s4, v5
	v_fma_f16 v5, v34, s5, v5
	v_add_f16_e32 v34, v47, v8
	v_add_f16_e32 v8, v8, v11
	;; [unrolled: 1-line block ×4, first 2 shown]
	v_fma_f16 v8, v8, -0.5, v47
	v_sub_f16_e32 v11, v35, v36
	v_add_f16_e32 v36, v37, v38
	v_lshrrev_b32_e32 v50, 16, v2
	v_fma_f16 v35, v11, s5, v8
	v_fma_f16 v8, v11, s4, v8
	v_add_f16_e32 v11, v2, v37
	v_fma_f16 v2, v36, -0.5, v2
	v_sub_f16_e32 v36, v9, v27
	v_fma_f16 v44, v36, s4, v2
	v_fma_f16 v36, v36, s5, v2
	v_add_f16_e32 v2, v50, v9
	v_add_f16_e32 v45, v2, v27
	;; [unrolled: 1-line block ×3, first 2 shown]
	v_fma_f16 v2, v2, -0.5, v50
	v_sub_f16_e32 v9, v37, v38
	v_fma_f16 v27, v9, s5, v2
	v_fma_f16 v9, v9, s4, v2
	v_pack_b32_f16 v2, v39, v40
	v_pack_b32_f16 v3, v6, v3
	;; [unrolled: 1-line block ×3, first 2 shown]
	ds_write2_b32 v59, v2, v6 offset1:27
	v_pack_b32_f16 v2, v42, v30
	v_pack_b32_f16 v6, v7, v12
	;; [unrolled: 1-line block ×3, first 2 shown]
	ds_write2_b32 v59, v2, v12 offset0:171 offset1:198
	v_pack_b32_f16 v2, v4, v10
	v_pack_b32_f16 v7, v19, v31
	ds_write2_b32 v23, v6, v2 offset0:59 offset1:86
	v_pack_b32_f16 v2, v13, v34
	ds_write2_b32 v59, v7, v2 offset0:54 offset1:81
	v_pack_b32_f16 v4, v43, v35
	v_add_u32_e32 v2, 0x200, v59
	v_add_f16_e32 v11, v11, v38
	ds_write2_b32 v2, v4, v3 offset0:97 offset1:160
	v_pack_b32_f16 v3, v5, v8
	v_pack_b32_f16 v28, v41, v28
	ds_write_b32 v59, v3 offset:1476
	v_pack_b32_f16 v3, v11, v45
	ds_write2_b32 v59, v3, v28 offset0:108 offset1:144
	v_pack_b32_f16 v3, v44, v27
	v_pack_b32_f16 v4, v36, v9
	v_add_u32_e32 v5, 0x200, v26
	ds_write2_b32 v5, v3, v4 offset0:16 offset1:160
	s_and_saveexec_b64 s[2:3], s[0:1]
	s_cbranch_execz .LBB0_29
; %bb.28:
	v_mul_f16_sdwa v3, v25, v14 dst_sel:DWORD dst_unused:UNUSED_PAD src0_sel:WORD_1 src1_sel:DWORD
	v_mul_f16_sdwa v4, v24, v1 dst_sel:DWORD dst_unused:UNUSED_PAD src0_sel:WORD_1 src1_sel:DWORD
	;; [unrolled: 1-line block ×4, first 2 shown]
	v_fma_f16 v3, v25, v22, -v3
	v_fma_f16 v4, v24, v21, -v4
	v_fma_f16 v1, v24, v1, v6
	v_fma_f16 v7, v25, v14, v7
	v_add_f16_e32 v6, v1, v0
	v_add_f16_e32 v8, v4, v3
	v_sub_f16_e32 v9, v1, v7
	v_add_f16_e32 v1, v1, v7
	v_add_f16_e32 v5, v4, v20
	v_fma_f16 v8, v8, -0.5, v20
	v_fma_f16 v0, v1, -0.5, v0
	v_sub_f16_e32 v1, v4, v3
	v_add_f16_e32 v5, v3, v5
	v_add_f16_e32 v6, v6, v7
	v_fma_f16 v10, v9, s4, v8
	v_fma_f16 v8, v9, s5, v8
	;; [unrolled: 1-line block ×4, first 2 shown]
	v_pack_b32_f16 v1, v6, v5
	v_pack_b32_f16 v0, v0, v8
	ds_write2_b32 v2, v1, v0 offset0:7 offset1:151
	v_pack_b32_f16 v0, v3, v10
	ds_write_b32 v59, v0 offset:1692
.LBB0_29:
	s_or_b64 exec, exec, s[2:3]
	s_waitcnt lgkmcnt(0)
	; wave barrier
	s_waitcnt lgkmcnt(0)
	ds_read2_b32 v[3:4], v59 offset1:27
	s_mov_b32 s12, 0xbda12f68
	s_mov_b32 s13, 0x3f62f684
	v_mad_u64_u32 v[5:6], s[2:3], s10, v17, 0
	s_waitcnt lgkmcnt(0)
	v_lshrrev_b32_e32 v8, 16, v3
	v_mul_f16_sdwa v0, v76, v8 dst_sel:DWORD dst_unused:UNUSED_PAD src0_sel:WORD_1 src1_sel:DWORD
	v_fma_f16 v0, v76, v3, v0
	v_cvt_f32_f16_e32 v0, v0
	s_movk_i32 s15, 0x1ff
	v_mov_b32_e32 v2, v6
	v_mad_u64_u32 v[6:7], s[2:3], s11, v17, v[2:3]
	v_cvt_f64_f32_e32 v[0:1], v0
	s_movk_i32 s10, 0xffe
	v_mul_f16_sdwa v3, v76, v3 dst_sel:DWORD dst_unused:UNUSED_PAD src0_sel:WORD_1 src1_sel:DWORD
	v_fma_f16 v3, v76, v8, -v3
	v_mul_f64 v[0:1], v[0:1], s[12:13]
	v_cvt_f32_f16_e32 v3, v3
	s_movk_i32 s11, 0x40f
	s_mov_b32 s14, 0x8000
	v_lshlrev_b64 v[5:6], 2, v[5:6]
	v_and_or_b32 v0, v1, s15, v0
	v_cmp_ne_u32_e32 vcc, 0, v0
	v_lshrrev_b32_e32 v2, 8, v1
	v_bfe_u32 v7, v1, 20, 11
	v_cndmask_b32_e64 v0, 0, 1, vcc
	v_sub_u32_e32 v9, 0x3f1, v7
	v_and_or_b32 v0, v2, s10, v0
	v_med3_i32 v2, v9, 0, 13
	v_or_b32_e32 v9, 0x1000, v0
	v_lshrrev_b32_e32 v10, v2, v9
	v_lshlrev_b32_e32 v2, v2, v10
	v_cmp_ne_u32_e32 vcc, v2, v9
	v_cndmask_b32_e64 v2, 0, 1, vcc
	v_add_u32_e32 v9, 0xfffffc10, v7
	v_or_b32_e32 v2, v10, v2
	v_lshl_or_b32 v7, v9, 12, v0
	v_cmp_gt_i32_e32 vcc, 1, v9
	v_cndmask_b32_e32 v2, v7, v2, vcc
	v_and_b32_e32 v7, 7, v2
	v_cmp_lt_i32_e32 vcc, 5, v7
	v_cmp_eq_u32_e64 s[2:3], 3, v7
	v_cvt_f64_f32_e32 v[7:8], v3
	v_lshrrev_b32_e32 v2, 2, v2
	s_or_b64 vcc, s[2:3], vcc
	v_addc_co_u32_e32 v10, vcc, 0, v2, vcc
	v_mul_f64 v[7:8], v[7:8], s[12:13]
	v_mov_b32_e32 v2, 0x7c00
	v_cmp_gt_i32_e32 vcc, 31, v9
	v_cndmask_b32_e32 v3, v2, v10, vcc
	v_cmp_ne_u32_e32 vcc, 0, v0
	v_cndmask_b32_e64 v0, 0, 1, vcc
	v_lshl_or_b32 v0, v0, 9, v2
	v_cmp_eq_u32_e32 vcc, s11, v9
	v_cndmask_b32_e32 v0, v3, v0, vcc
	v_lshrrev_b32_e32 v1, 16, v1
	v_and_or_b32 v11, v1, s14, v0
	v_and_or_b32 v0, v8, s15, v7
	v_cmp_ne_u32_e32 vcc, 0, v0
	v_cndmask_b32_e64 v0, 0, 1, vcc
	v_lshrrev_b32_e32 v1, 8, v8
	v_bfe_u32 v3, v8, 20, 11
	v_and_or_b32 v0, v1, s10, v0
	v_sub_u32_e32 v7, 0x3f1, v3
	v_or_b32_e32 v1, 0x1000, v0
	v_med3_i32 v7, v7, 0, 13
	v_lshrrev_b32_e32 v9, v7, v1
	v_lshlrev_b32_e32 v7, v7, v9
	v_cmp_ne_u32_e32 vcc, v7, v1
	v_cndmask_b32_e64 v1, 0, 1, vcc
	v_add_u32_e32 v3, 0xfffffc10, v3
	v_or_b32_e32 v1, v9, v1
	v_lshl_or_b32 v7, v3, 12, v0
	v_cmp_gt_i32_e32 vcc, 1, v3
	v_cndmask_b32_e32 v1, v7, v1, vcc
	v_and_b32_e32 v7, 7, v1
	v_cmp_lt_i32_e32 vcc, 5, v7
	v_cmp_eq_u32_e64 s[2:3], 3, v7
	v_lshrrev_b32_e32 v1, 2, v1
	s_or_b64 vcc, s[2:3], vcc
	v_addc_co_u32_e32 v1, vcc, 0, v1, vcc
	v_cmp_gt_i32_e32 vcc, 31, v3
	v_cndmask_b32_e32 v1, v2, v1, vcc
	v_cmp_ne_u32_e32 vcc, 0, v0
	v_cndmask_b32_e64 v0, 0, 1, vcc
	v_lshl_or_b32 v0, v0, 9, v2
	v_cmp_eq_u32_e32 vcc, s11, v3
	v_mad_u64_u32 v[9:10], s[2:3], s8, v75, 0
	v_cndmask_b32_e32 v12, v1, v0, vcc
	ds_read2_b32 v[0:1], v59 offset0:108 offset1:144
	v_mov_b32_e32 v3, v10
	v_lshrrev_b32_e32 v13, 16, v8
	v_mad_u64_u32 v[7:8], s[2:3], s9, v75, v[3:4]
	s_waitcnt lgkmcnt(0)
	v_lshrrev_b32_e32 v3, 16, v1
	v_mul_f16_sdwa v8, v74, v3 dst_sel:DWORD dst_unused:UNUSED_PAD src0_sel:WORD_1 src1_sel:DWORD
	v_fma_f16 v8, v74, v1, v8
	v_cvt_f32_f16_e32 v8, v8
	v_mov_b32_e32 v10, v7
	v_and_or_b32 v12, v13, s14, v12
	v_and_b32_e32 v11, 0xffff, v11
	v_cvt_f64_f32_e32 v[7:8], v8
	v_lshl_or_b32 v11, v12, 16, v11
	v_mov_b32_e32 v12, s7
	v_add_co_u32_e32 v13, vcc, s6, v5
	v_mul_f64 v[7:8], v[7:8], s[12:13]
	v_addc_co_u32_e32 v14, vcc, v12, v6, vcc
	v_lshlrev_b64 v[5:6], 2, v[9:10]
	v_mul_f16_sdwa v1, v74, v1 dst_sel:DWORD dst_unused:UNUSED_PAD src0_sel:WORD_1 src1_sel:DWORD
	v_add_co_u32_e32 v5, vcc, v13, v5
	v_addc_co_u32_e32 v6, vcc, v14, v6, vcc
	v_and_or_b32 v7, v8, s15, v7
	v_cmp_ne_u32_e32 vcc, 0, v7
	v_cndmask_b32_e64 v7, 0, 1, vcc
	v_lshrrev_b32_e32 v9, 8, v8
	v_bfe_u32 v10, v8, 20, 11
	global_store_dword v[5:6], v11, off
	v_and_or_b32 v7, v9, s10, v7
	v_sub_u32_e32 v11, 0x3f1, v10
	v_or_b32_e32 v9, 0x1000, v7
	v_med3_i32 v11, v11, 0, 13
	v_lshrrev_b32_e32 v12, v11, v9
	v_lshlrev_b32_e32 v11, v11, v12
	v_cmp_ne_u32_e32 vcc, v11, v9
	v_fma_f16 v1, v74, v3, -v1
	v_cndmask_b32_e64 v9, 0, 1, vcc
	v_add_u32_e32 v11, 0xfffffc10, v10
	v_cvt_f32_f16_e32 v1, v1
	v_or_b32_e32 v9, v12, v9
	v_lshl_or_b32 v10, v11, 12, v7
	v_cmp_gt_i32_e32 vcc, 1, v11
	v_cndmask_b32_e32 v9, v10, v9, vcc
	v_and_b32_e32 v10, 7, v9
	v_cmp_lt_i32_e32 vcc, 5, v10
	v_cmp_eq_u32_e64 s[2:3], 3, v10
	v_lshrrev_b32_e32 v3, 2, v9
	v_cvt_f64_f32_e32 v[9:10], v1
	s_or_b64 vcc, s[2:3], vcc
	v_addc_co_u32_e32 v1, vcc, 0, v3, vcc
	v_mul_f64 v[9:10], v[9:10], s[12:13]
	v_cmp_gt_i32_e32 vcc, 31, v11
	v_cndmask_b32_e32 v1, v2, v1, vcc
	v_cmp_ne_u32_e32 vcc, 0, v7
	v_cndmask_b32_e64 v3, 0, 1, vcc
	v_lshl_or_b32 v3, v3, 9, v2
	v_cmp_eq_u32_e32 vcc, s11, v11
	v_cndmask_b32_e32 v1, v1, v3, vcc
	v_lshrrev_b32_e32 v3, 16, v8
	v_and_or_b32 v1, v3, s14, v1
	v_and_or_b32 v3, v10, s15, v9
	v_cmp_ne_u32_e32 vcc, 0, v3
	v_cndmask_b32_e64 v3, 0, 1, vcc
	v_lshrrev_b32_e32 v7, 8, v10
	v_bfe_u32 v8, v10, 20, 11
	v_and_or_b32 v3, v7, s10, v3
	v_sub_u32_e32 v9, 0x3f1, v8
	v_or_b32_e32 v7, 0x1000, v3
	v_med3_i32 v9, v9, 0, 13
	v_lshrrev_b32_e32 v11, v9, v7
	v_lshlrev_b32_e32 v9, v9, v11
	v_cmp_ne_u32_e32 vcc, v9, v7
	v_cndmask_b32_e64 v7, 0, 1, vcc
	v_add_u32_e32 v9, 0xfffffc10, v8
	v_or_b32_e32 v7, v11, v7
	v_lshl_or_b32 v8, v9, 12, v3
	v_cmp_gt_i32_e32 vcc, 1, v9
	v_cndmask_b32_e32 v7, v8, v7, vcc
	v_and_b32_e32 v8, 7, v7
	v_cmp_lt_i32_e32 vcc, 5, v8
	v_cmp_eq_u32_e64 s[2:3], 3, v8
	v_lshrrev_b32_e32 v7, 2, v7
	s_or_b64 vcc, s[2:3], vcc
	v_addc_co_u32_e32 v7, vcc, 0, v7, vcc
	v_cmp_gt_i32_e32 vcc, 31, v9
	v_cndmask_b32_e32 v11, v2, v7, vcc
	v_cmp_ne_u32_e32 vcc, 0, v3
	v_cndmask_b32_e64 v3, 0, 1, vcc
	v_lshl_or_b32 v12, v3, 9, v2
	v_add_u32_e32 v3, 0x400, v59
	ds_read2_b32 v[7:8], v3 offset0:32 offset1:59
	v_cmp_eq_u32_e32 vcc, s11, v9
	v_cndmask_b32_e32 v9, v11, v12, vcc
	v_lshrrev_b32_e32 v10, 16, v10
	v_and_or_b32 v11, v10, s14, v9
	s_waitcnt lgkmcnt(0)
	v_lshrrev_b32_e32 v12, 16, v7
	v_mul_f16_sdwa v9, v73, v12 dst_sel:DWORD dst_unused:UNUSED_PAD src0_sel:WORD_1 src1_sel:DWORD
	v_fma_f16 v9, v73, v7, v9
	v_cvt_f32_f16_e32 v9, v9
	s_mul_i32 s2, s9, 0x90
	s_mul_hi_u32 s3, s8, 0x90
	s_add_i32 s3, s3, s2
	v_cvt_f64_f32_e32 v[9:10], v9
	s_mul_i32 s2, s8, 0x90
	v_and_b32_e32 v1, 0xffff, v1
	s_lshl_b64 s[6:7], s[2:3], 2
	v_mul_f64 v[9:10], v[9:10], s[12:13]
	v_lshl_or_b32 v11, v11, 16, v1
	v_mov_b32_e32 v1, s7
	v_add_co_u32_e32 v5, vcc, s6, v5
	v_addc_co_u32_e32 v6, vcc, v6, v1, vcc
	global_store_dword v[5:6], v11, off
	v_and_or_b32 v9, v10, s15, v9
	v_cmp_ne_u32_e32 vcc, 0, v9
	v_cndmask_b32_e64 v9, 0, 1, vcc
	v_lshrrev_b32_e32 v11, 8, v10
	v_bfe_u32 v17, v10, 20, 11
	v_and_or_b32 v9, v11, s10, v9
	v_sub_u32_e32 v18, 0x3f1, v17
	v_or_b32_e32 v11, 0x1000, v9
	v_med3_i32 v18, v18, 0, 13
	v_lshrrev_b32_e32 v19, v18, v11
	v_lshlrev_b32_e32 v18, v18, v19
	v_mul_f16_sdwa v7, v73, v7 dst_sel:DWORD dst_unused:UNUSED_PAD src0_sel:WORD_1 src1_sel:DWORD
	v_cmp_ne_u32_e32 vcc, v18, v11
	v_fma_f16 v7, v73, v12, -v7
	v_cndmask_b32_e64 v11, 0, 1, vcc
	v_add_u32_e32 v17, 0xfffffc10, v17
	v_cvt_f32_f16_e32 v7, v7
	v_or_b32_e32 v11, v19, v11
	v_lshl_or_b32 v18, v17, 12, v9
	v_cmp_gt_i32_e32 vcc, 1, v17
	v_cndmask_b32_e32 v11, v18, v11, vcc
	v_and_b32_e32 v18, 7, v11
	v_cmp_lt_i32_e32 vcc, 5, v18
	v_cmp_eq_u32_e64 s[2:3], 3, v18
	v_lshrrev_b32_e32 v18, 2, v11
	v_cvt_f64_f32_e32 v[11:12], v7
	s_or_b64 vcc, s[2:3], vcc
	v_addc_co_u32_e32 v7, vcc, 0, v18, vcc
	v_mul_f64 v[11:12], v[11:12], s[12:13]
	v_cmp_gt_i32_e32 vcc, 31, v17
	v_cndmask_b32_e32 v7, v2, v7, vcc
	v_cmp_ne_u32_e32 vcc, 0, v9
	v_cndmask_b32_e64 v9, 0, 1, vcc
	v_lshl_or_b32 v9, v9, 9, v2
	v_cmp_eq_u32_e32 vcc, s11, v17
	v_cndmask_b32_e32 v7, v7, v9, vcc
	v_lshrrev_b32_e32 v9, 16, v10
	v_and_or_b32 v17, v9, s14, v7
	v_and_or_b32 v7, v12, s15, v11
	v_cmp_ne_u32_e32 vcc, 0, v7
	v_cndmask_b32_e64 v7, 0, 1, vcc
	v_lshrrev_b32_e32 v9, 8, v12
	v_bfe_u32 v10, v12, 20, 11
	v_and_or_b32 v7, v9, s10, v7
	v_sub_u32_e32 v11, 0x3f1, v10
	v_or_b32_e32 v9, 0x1000, v7
	v_med3_i32 v11, v11, 0, 13
	v_lshrrev_b32_e32 v18, v11, v9
	v_lshlrev_b32_e32 v11, v11, v18
	v_cmp_ne_u32_e32 vcc, v11, v9
	v_cndmask_b32_e64 v9, 0, 1, vcc
	v_add_u32_e32 v11, 0xfffffc10, v10
	v_or_b32_e32 v9, v18, v9
	v_lshl_or_b32 v10, v11, 12, v7
	v_cmp_gt_i32_e32 vcc, 1, v11
	v_cndmask_b32_e32 v9, v10, v9, vcc
	v_and_b32_e32 v10, 7, v9
	v_cmp_lt_i32_e32 vcc, 5, v10
	v_cmp_eq_u32_e64 s[2:3], 3, v10
	v_lshrrev_b32_e32 v9, 2, v9
	s_or_b64 vcc, s[2:3], vcc
	v_addc_co_u32_e32 v9, vcc, 0, v9, vcc
	v_cmp_gt_i32_e32 vcc, 31, v11
	v_cndmask_b32_e32 v18, v2, v9, vcc
	v_mad_u64_u32 v[9:10], s[2:3], s8, v71, 0
	v_cmp_ne_u32_e32 vcc, 0, v7
	v_cndmask_b32_e64 v7, 0, 1, vcc
	v_lshl_or_b32 v7, v7, 9, v2
	v_cmp_eq_u32_e32 vcc, s11, v11
	v_lshrrev_b32_e32 v19, 16, v4
	v_cndmask_b32_e32 v18, v18, v7, vcc
	v_mov_b32_e32 v7, v10
	v_mul_f16_sdwa v10, v72, v19 dst_sel:DWORD dst_unused:UNUSED_PAD src0_sel:WORD_1 src1_sel:DWORD
	v_fma_f16 v10, v72, v4, v10
	v_cvt_f32_f16_e32 v20, v10
	v_mad_u64_u32 v[10:11], s[2:3], s9, v71, v[7:8]
	v_lshrrev_b32_e32 v7, 16, v12
	v_cvt_f64_f32_e32 v[11:12], v20
	v_lshlrev_b64 v[9:10], 2, v[9:10]
	v_and_or_b32 v7, v7, s14, v18
	v_and_b32_e32 v17, 0xffff, v17
	v_mul_f64 v[11:12], v[11:12], s[12:13]
	v_add_co_u32_e32 v9, vcc, v13, v9
	v_lshl_or_b32 v7, v7, 16, v17
	v_addc_co_u32_e32 v10, vcc, v14, v10, vcc
	global_store_dword v[9:10], v7, off
	v_mul_f16_sdwa v4, v72, v4 dst_sel:DWORD dst_unused:UNUSED_PAD src0_sel:WORD_1 src1_sel:DWORD
	v_and_or_b32 v7, v12, s15, v11
	v_cmp_ne_u32_e32 vcc, 0, v7
	v_cndmask_b32_e64 v7, 0, 1, vcc
	v_lshrrev_b32_e32 v9, 8, v12
	v_bfe_u32 v10, v12, 20, 11
	v_and_or_b32 v7, v9, s10, v7
	v_sub_u32_e32 v11, 0x3f1, v10
	v_or_b32_e32 v9, 0x1000, v7
	v_med3_i32 v11, v11, 0, 13
	v_lshrrev_b32_e32 v13, v11, v9
	v_lshlrev_b32_e32 v11, v11, v13
	v_cmp_ne_u32_e32 vcc, v11, v9
	v_fma_f16 v4, v72, v19, -v4
	v_cndmask_b32_e64 v9, 0, 1, vcc
	v_add_u32_e32 v11, 0xfffffc10, v10
	v_cvt_f32_f16_e32 v4, v4
	v_or_b32_e32 v9, v13, v9
	v_lshl_or_b32 v10, v11, 12, v7
	v_cmp_gt_i32_e32 vcc, 1, v11
	v_cndmask_b32_e32 v9, v10, v9, vcc
	v_and_b32_e32 v10, 7, v9
	v_cmp_lt_i32_e32 vcc, 5, v10
	v_cmp_eq_u32_e64 s[2:3], 3, v10
	v_lshrrev_b32_e32 v13, 2, v9
	v_cvt_f64_f32_e32 v[9:10], v4
	s_or_b64 vcc, s[2:3], vcc
	v_addc_co_u32_e32 v4, vcc, 0, v13, vcc
	v_mul_f64 v[9:10], v[9:10], s[12:13]
	v_cmp_gt_i32_e32 vcc, 31, v11
	v_cndmask_b32_e32 v4, v2, v4, vcc
	v_cmp_ne_u32_e32 vcc, 0, v7
	v_cndmask_b32_e64 v7, 0, 1, vcc
	v_lshl_or_b32 v7, v7, 9, v2
	v_cmp_eq_u32_e32 vcc, s11, v11
	v_cndmask_b32_e32 v4, v4, v7, vcc
	v_lshrrev_b32_e32 v7, 16, v12
	v_and_or_b32 v4, v7, s14, v4
	v_and_or_b32 v7, v10, s15, v9
	v_cmp_ne_u32_e32 vcc, 0, v7
	v_cndmask_b32_e64 v7, 0, 1, vcc
	v_lshrrev_b32_e32 v9, 8, v10
	v_bfe_u32 v11, v10, 20, 11
	v_and_or_b32 v7, v9, s10, v7
	v_sub_u32_e32 v12, 0x3f1, v11
	v_or_b32_e32 v9, 0x1000, v7
	v_med3_i32 v12, v12, 0, 13
	v_lshrrev_b32_e32 v13, v12, v9
	v_lshlrev_b32_e32 v12, v12, v13
	v_cmp_ne_u32_e32 vcc, v12, v9
	v_cndmask_b32_e64 v9, 0, 1, vcc
	v_or_b32_e32 v9, v13, v9
	v_add_u32_e32 v13, 0xfffffc10, v11
	v_lshl_or_b32 v11, v13, 12, v7
	v_cmp_gt_i32_e32 vcc, 1, v13
	v_cndmask_b32_e32 v9, v11, v9, vcc
	v_and_b32_e32 v11, 7, v9
	v_cmp_lt_i32_e32 vcc, 5, v11
	v_cmp_eq_u32_e64 s[2:3], 3, v11
	ds_read2_b32 v[11:12], v59 offset0:171 offset1:198
	v_lshrrev_b32_e32 v9, 2, v9
	s_or_b64 vcc, s[2:3], vcc
	v_addc_co_u32_e32 v9, vcc, 0, v9, vcc
	s_waitcnt lgkmcnt(0)
	v_lshrrev_b32_e32 v14, 16, v11
	v_mul_f16_sdwa v17, v70, v14 dst_sel:DWORD dst_unused:UNUSED_PAD src0_sel:WORD_1 src1_sel:DWORD
	v_fma_f16 v17, v70, v11, v17
	v_cmp_gt_i32_e32 vcc, 31, v13
	v_cvt_f32_f16_e32 v17, v17
	v_cndmask_b32_e32 v9, v2, v9, vcc
	v_cmp_ne_u32_e32 vcc, 0, v7
	v_cndmask_b32_e64 v7, 0, 1, vcc
	v_lshl_or_b32 v7, v7, 9, v2
	v_cmp_eq_u32_e32 vcc, s11, v13
	v_cndmask_b32_e32 v7, v9, v7, vcc
	v_lshrrev_b32_e32 v13, 16, v10
	v_cvt_f64_f32_e32 v[9:10], v17
	v_and_or_b32 v7, v13, s14, v7
	v_and_b32_e32 v13, 0xffff, v4
	v_mov_b32_e32 v4, 0xfffffe2c
	v_mul_f64 v[9:10], v[9:10], s[12:13]
	v_mad_u64_u32 v[4:5], s[2:3], s8, v4, v[5:6]
	s_mul_i32 s2, s9, 0xfffffe2c
	s_sub_i32 s2, s2, s8
	v_lshl_or_b32 v6, v7, 16, v13
	v_add_u32_e32 v5, s2, v5
	global_store_dword v[4:5], v6, off
	v_and_or_b32 v6, v10, s15, v9
	v_cmp_ne_u32_e32 vcc, 0, v6
	v_cndmask_b32_e64 v6, 0, 1, vcc
	v_lshrrev_b32_e32 v7, 8, v10
	v_and_or_b32 v9, v7, s10, v6
	v_bfe_u32 v7, v10, 20, 11
	v_sub_u32_e32 v13, 0x3f1, v7
	v_or_b32_e32 v6, 0x1000, v9
	v_med3_i32 v13, v13, 0, 13
	v_lshrrev_b32_e32 v17, v13, v6
	v_lshlrev_b32_e32 v13, v13, v17
	v_mul_f16_sdwa v11, v70, v11 dst_sel:DWORD dst_unused:UNUSED_PAD src0_sel:WORD_1 src1_sel:DWORD
	v_cmp_ne_u32_e32 vcc, v13, v6
	v_fma_f16 v11, v70, v14, -v11
	v_cndmask_b32_e64 v6, 0, 1, vcc
	v_add_u32_e32 v13, 0xfffffc10, v7
	v_cvt_f32_f16_e32 v11, v11
	v_or_b32_e32 v6, v17, v6
	v_lshl_or_b32 v7, v13, 12, v9
	v_cmp_gt_i32_e32 vcc, 1, v13
	v_cndmask_b32_e32 v6, v7, v6, vcc
	v_and_b32_e32 v7, 7, v6
	v_cmp_lt_i32_e32 vcc, 5, v7
	v_cmp_eq_u32_e64 s[2:3], 3, v7
	v_lshrrev_b32_e32 v14, 2, v6
	v_cvt_f64_f32_e32 v[6:7], v11
	s_or_b64 vcc, s[2:3], vcc
	v_addc_co_u32_e32 v11, vcc, 0, v14, vcc
	v_mul_f64 v[6:7], v[6:7], s[12:13]
	v_cmp_gt_i32_e32 vcc, 31, v13
	v_cndmask_b32_e32 v11, v2, v11, vcc
	v_cmp_ne_u32_e32 vcc, 0, v9
	v_cndmask_b32_e64 v9, 0, 1, vcc
	v_lshl_or_b32 v9, v9, 9, v2
	v_cmp_eq_u32_e32 vcc, s11, v13
	v_cndmask_b32_e32 v9, v11, v9, vcc
	v_and_or_b32 v6, v7, s15, v6
	v_lshrrev_b32_e32 v10, 16, v10
	v_cmp_ne_u32_e32 vcc, 0, v6
	v_and_or_b32 v11, v10, s14, v9
	v_cndmask_b32_e64 v6, 0, 1, vcc
	v_lshrrev_b32_e32 v9, 8, v7
	v_bfe_u32 v10, v7, 20, 11
	v_and_or_b32 v6, v9, s10, v6
	v_sub_u32_e32 v13, 0x3f1, v10
	v_or_b32_e32 v9, 0x1000, v6
	v_med3_i32 v13, v13, 0, 13
	v_lshrrev_b32_e32 v14, v13, v9
	v_lshlrev_b32_e32 v13, v13, v14
	v_cmp_ne_u32_e32 vcc, v13, v9
	v_cndmask_b32_e64 v9, 0, 1, vcc
	v_add_u32_e32 v13, 0xfffffc10, v10
	v_or_b32_e32 v9, v14, v9
	v_lshl_or_b32 v10, v13, 12, v6
	v_cmp_gt_i32_e32 vcc, 1, v13
	v_cndmask_b32_e32 v9, v10, v9, vcc
	v_and_b32_e32 v10, 7, v9
	v_cmp_lt_i32_e32 vcc, 5, v10
	v_cmp_eq_u32_e64 s[2:3], 3, v10
	v_lshrrev_b32_e32 v9, 2, v9
	s_or_b64 vcc, s[2:3], vcc
	v_addc_co_u32_e32 v9, vcc, 0, v9, vcc
	v_cmp_gt_i32_e32 vcc, 31, v13
	v_lshrrev_b32_e32 v17, 16, v8
	v_cndmask_b32_e32 v14, v2, v9, vcc
	v_mul_f16_sdwa v9, v69, v17 dst_sel:DWORD dst_unused:UNUSED_PAD src0_sel:WORD_1 src1_sel:DWORD
	v_fma_f16 v9, v69, v8, v9
	v_cvt_f32_f16_e32 v9, v9
	v_cmp_ne_u32_e32 vcc, 0, v6
	v_cndmask_b32_e64 v6, 0, 1, vcc
	v_lshl_or_b32 v6, v6, 9, v2
	v_cvt_f64_f32_e32 v[9:10], v9
	v_cmp_eq_u32_e32 vcc, s11, v13
	v_cndmask_b32_e32 v6, v14, v6, vcc
	v_lshrrev_b32_e32 v7, 16, v7
	v_and_or_b32 v13, v7, s14, v6
	v_mul_f64 v[6:7], v[9:10], s[12:13]
	v_add_co_u32_e32 v4, vcc, s6, v4
	v_and_b32_e32 v9, 0xffff, v11
	v_addc_co_u32_e32 v5, vcc, v5, v1, vcc
	v_lshl_or_b32 v9, v13, 16, v9
	global_store_dword v[4:5], v9, off
	v_and_or_b32 v6, v7, s15, v6
	v_cmp_ne_u32_e32 vcc, 0, v6
	v_cndmask_b32_e64 v6, 0, 1, vcc
	v_lshrrev_b32_e32 v9, 8, v7
	v_bfe_u32 v10, v7, 20, 11
	v_and_or_b32 v6, v9, s10, v6
	v_sub_u32_e32 v11, 0x3f1, v10
	v_or_b32_e32 v9, 0x1000, v6
	v_med3_i32 v11, v11, 0, 13
	v_lshrrev_b32_e32 v13, v11, v9
	v_lshlrev_b32_e32 v11, v11, v13
	v_mul_f16_sdwa v8, v69, v8 dst_sel:DWORD dst_unused:UNUSED_PAD src0_sel:WORD_1 src1_sel:DWORD
	v_cmp_ne_u32_e32 vcc, v11, v9
	v_fma_f16 v8, v69, v17, -v8
	v_cndmask_b32_e64 v9, 0, 1, vcc
	v_add_u32_e32 v10, 0xfffffc10, v10
	v_cvt_f32_f16_e32 v8, v8
	v_or_b32_e32 v9, v13, v9
	v_lshl_or_b32 v11, v10, 12, v6
	v_cmp_gt_i32_e32 vcc, 1, v10
	v_cndmask_b32_e32 v9, v11, v9, vcc
	v_and_b32_e32 v11, 7, v9
	v_cmp_lt_i32_e32 vcc, 5, v11
	v_cmp_eq_u32_e64 s[2:3], 3, v11
	v_lshrrev_b32_e32 v11, 2, v9
	v_cvt_f64_f32_e32 v[8:9], v8
	s_or_b64 vcc, s[2:3], vcc
	v_addc_co_u32_e32 v11, vcc, 0, v11, vcc
	v_mul_f64 v[8:9], v[8:9], s[12:13]
	v_cmp_gt_i32_e32 vcc, 31, v10
	v_cndmask_b32_e32 v11, v2, v11, vcc
	v_cmp_ne_u32_e32 vcc, 0, v6
	v_cndmask_b32_e64 v6, 0, 1, vcc
	v_lshl_or_b32 v6, v6, 9, v2
	v_cmp_eq_u32_e32 vcc, s11, v10
	v_cndmask_b32_e32 v6, v11, v6, vcc
	v_lshrrev_b32_e32 v7, 16, v7
	v_and_or_b32 v13, v7, s14, v6
	v_and_or_b32 v6, v9, s15, v8
	v_cmp_ne_u32_e32 vcc, 0, v6
	v_cndmask_b32_e64 v6, 0, 1, vcc
	v_lshrrev_b32_e32 v7, 8, v9
	v_and_or_b32 v8, v7, s10, v6
	v_bfe_u32 v7, v9, 20, 11
	v_sub_u32_e32 v10, 0x3f1, v7
	v_or_b32_e32 v6, 0x1000, v8
	v_med3_i32 v10, v10, 0, 13
	v_lshrrev_b32_e32 v11, v10, v6
	v_lshlrev_b32_e32 v10, v10, v11
	v_cmp_ne_u32_e32 vcc, v10, v6
	v_cndmask_b32_e64 v6, 0, 1, vcc
	v_add_u32_e32 v14, 0xfffffc10, v7
	v_or_b32_e32 v6, v11, v6
	v_lshl_or_b32 v7, v14, 12, v8
	v_cmp_gt_i32_e32 vcc, 1, v14
	v_cndmask_b32_e32 v6, v7, v6, vcc
	v_and_b32_e32 v7, 7, v6
	v_cmp_lt_i32_e32 vcc, 5, v7
	v_cmp_eq_u32_e64 s[2:3], 3, v7
	v_lshrrev_b32_e32 v10, 2, v6
	ds_read2_b32 v[6:7], v59 offset0:54 offset1:81
	s_or_b64 vcc, s[2:3], vcc
	v_addc_co_u32_e32 v10, vcc, 0, v10, vcc
	v_cmp_gt_i32_e32 vcc, 31, v14
	s_waitcnt lgkmcnt(0)
	v_lshrrev_b32_e32 v18, 16, v6
	v_cndmask_b32_e32 v17, v2, v10, vcc
	v_mul_f16_sdwa v10, v68, v18 dst_sel:DWORD dst_unused:UNUSED_PAD src0_sel:WORD_1 src1_sel:DWORD
	v_fma_f16 v10, v68, v6, v10
	v_cvt_f32_f16_e32 v10, v10
	v_cmp_ne_u32_e32 vcc, 0, v8
	v_cndmask_b32_e64 v8, 0, 1, vcc
	v_lshl_or_b32 v8, v8, 9, v2
	v_cvt_f64_f32_e32 v[10:11], v10
	v_cmp_eq_u32_e32 vcc, s11, v14
	v_cndmask_b32_e32 v8, v17, v8, vcc
	v_lshrrev_b32_e32 v9, 16, v9
	v_and_or_b32 v14, v9, s14, v8
	v_mul_f64 v[8:9], v[10:11], s[12:13]
	v_and_b32_e32 v10, 0xffff, v13
	v_lshl_or_b32 v13, v14, 16, v10
	v_add_co_u32_e32 v10, vcc, s6, v4
	v_addc_co_u32_e32 v11, vcc, v5, v1, vcc
	global_store_dword v[10:11], v13, off
	v_and_or_b32 v4, v9, s15, v8
	v_cmp_ne_u32_e32 vcc, 0, v4
	v_cndmask_b32_e64 v4, 0, 1, vcc
	v_lshrrev_b32_e32 v5, 8, v9
	v_and_or_b32 v8, v5, s10, v4
	v_bfe_u32 v5, v9, 20, 11
	v_sub_u32_e32 v13, 0x3f1, v5
	v_or_b32_e32 v4, 0x1000, v8
	v_med3_i32 v13, v13, 0, 13
	v_lshrrev_b32_e32 v14, v13, v4
	v_lshlrev_b32_e32 v13, v13, v14
	v_mul_f16_sdwa v6, v68, v6 dst_sel:DWORD dst_unused:UNUSED_PAD src0_sel:WORD_1 src1_sel:DWORD
	v_cmp_ne_u32_e32 vcc, v13, v4
	v_fma_f16 v6, v68, v18, -v6
	v_cndmask_b32_e64 v4, 0, 1, vcc
	v_add_u32_e32 v13, 0xfffffc10, v5
	v_cvt_f32_f16_e32 v6, v6
	v_or_b32_e32 v4, v14, v4
	v_lshl_or_b32 v5, v13, 12, v8
	v_cmp_gt_i32_e32 vcc, 1, v13
	v_cndmask_b32_e32 v4, v5, v4, vcc
	v_and_b32_e32 v5, 7, v4
	v_cmp_lt_i32_e32 vcc, 5, v5
	v_cmp_eq_u32_e64 s[2:3], 3, v5
	v_lshrrev_b32_e32 v14, 2, v4
	v_cvt_f64_f32_e32 v[4:5], v6
	s_or_b64 vcc, s[2:3], vcc
	v_addc_co_u32_e32 v6, vcc, 0, v14, vcc
	v_mul_f64 v[4:5], v[4:5], s[12:13]
	v_cmp_gt_i32_e32 vcc, 31, v13
	v_cndmask_b32_e32 v6, v2, v6, vcc
	v_cmp_ne_u32_e32 vcc, 0, v8
	v_cndmask_b32_e64 v8, 0, 1, vcc
	v_lshl_or_b32 v8, v8, 9, v2
	v_cmp_eq_u32_e32 vcc, s11, v13
	v_cndmask_b32_e32 v6, v6, v8, vcc
	v_and_or_b32 v4, v5, s15, v4
	v_lshrrev_b32_e32 v8, 16, v9
	v_cmp_ne_u32_e32 vcc, 0, v4
	v_and_or_b32 v6, v8, s14, v6
	v_cndmask_b32_e64 v4, 0, 1, vcc
	v_lshrrev_b32_e32 v8, 8, v5
	v_bfe_u32 v9, v5, 20, 11
	v_and_or_b32 v4, v8, s10, v4
	v_sub_u32_e32 v13, 0x3f1, v9
	v_or_b32_e32 v8, 0x1000, v4
	v_med3_i32 v13, v13, 0, 13
	v_lshrrev_b32_e32 v14, v13, v8
	v_lshlrev_b32_e32 v13, v13, v14
	v_cmp_ne_u32_e32 vcc, v13, v8
	v_cndmask_b32_e64 v8, 0, 1, vcc
	v_add_u32_e32 v9, 0xfffffc10, v9
	v_or_b32_e32 v8, v14, v8
	v_lshl_or_b32 v13, v9, 12, v4
	v_cmp_gt_i32_e32 vcc, 1, v9
	v_cndmask_b32_e32 v8, v13, v8, vcc
	v_and_b32_e32 v13, 7, v8
	v_cmp_lt_i32_e32 vcc, 5, v13
	v_cmp_eq_u32_e64 s[2:3], 3, v13
	v_lshrrev_b32_e32 v8, 2, v8
	s_or_b64 vcc, s[2:3], vcc
	v_addc_co_u32_e32 v8, vcc, 0, v8, vcc
	v_cmp_gt_i32_e32 vcc, 31, v9
	v_cndmask_b32_e32 v8, v2, v8, vcc
	v_cmp_ne_u32_e32 vcc, 0, v4
	v_cndmask_b32_e64 v4, 0, 1, vcc
	v_lshl_or_b32 v4, v4, 9, v2
	v_cmp_eq_u32_e32 vcc, s11, v9
	v_cndmask_b32_e32 v4, v8, v4, vcc
	v_lshrrev_b32_e32 v5, 16, v5
	v_lshrrev_b32_e32 v13, 16, v12
	v_and_or_b32 v8, v5, s14, v4
	v_mul_f16_sdwa v4, v67, v13 dst_sel:DWORD dst_unused:UNUSED_PAD src0_sel:WORD_1 src1_sel:DWORD
	v_fma_f16 v4, v67, v12, v4
	v_cvt_f32_f16_e32 v4, v4
	v_and_b32_e32 v6, 0xffff, v6
	v_lshl_or_b32 v14, v8, 16, v6
	s_mul_hi_u32 s3, s8, 0xfffffefb
	v_cvt_f64_f32_e32 v[4:5], v4
	s_mul_i32 s2, s9, 0xfffffefb
	s_sub_i32 s3, s3, s8
	s_add_i32 s3, s3, s2
	v_mul_f64 v[5:6], v[4:5], s[12:13]
	s_mul_i32 s2, s8, 0xfffffefb
	s_lshl_b64 s[4:5], s[2:3], 2
	v_mov_b32_e32 v4, s5
	v_add_co_u32_e32 v8, vcc, s4, v10
	v_addc_co_u32_e32 v9, vcc, v11, v4, vcc
	v_and_or_b32 v5, v6, s15, v5
	v_cmp_ne_u32_e32 vcc, 0, v5
	v_cndmask_b32_e64 v5, 0, 1, vcc
	v_lshrrev_b32_e32 v10, 8, v6
	v_bfe_u32 v11, v6, 20, 11
	global_store_dword v[8:9], v14, off
	v_and_or_b32 v5, v10, s10, v5
	v_sub_u32_e32 v14, 0x3f1, v11
	v_or_b32_e32 v10, 0x1000, v5
	v_med3_i32 v14, v14, 0, 13
	v_lshrrev_b32_e32 v17, v14, v10
	v_lshlrev_b32_e32 v14, v14, v17
	v_mul_f16_sdwa v12, v67, v12 dst_sel:DWORD dst_unused:UNUSED_PAD src0_sel:WORD_1 src1_sel:DWORD
	v_cmp_ne_u32_e32 vcc, v14, v10
	v_fma_f16 v12, v67, v13, -v12
	v_cndmask_b32_e64 v10, 0, 1, vcc
	v_add_u32_e32 v14, 0xfffffc10, v11
	v_cvt_f32_f16_e32 v12, v12
	v_or_b32_e32 v10, v17, v10
	v_lshl_or_b32 v11, v14, 12, v5
	v_cmp_gt_i32_e32 vcc, 1, v14
	v_cndmask_b32_e32 v10, v11, v10, vcc
	v_and_b32_e32 v11, 7, v10
	v_cmp_lt_i32_e32 vcc, 5, v11
	v_cmp_eq_u32_e64 s[2:3], 3, v11
	v_lshrrev_b32_e32 v13, 2, v10
	v_cvt_f64_f32_e32 v[10:11], v12
	s_or_b64 vcc, s[2:3], vcc
	v_addc_co_u32_e32 v12, vcc, 0, v13, vcc
	v_mul_f64 v[10:11], v[10:11], s[12:13]
	v_cmp_gt_i32_e32 vcc, 31, v14
	v_cndmask_b32_e32 v12, v2, v12, vcc
	v_cmp_ne_u32_e32 vcc, 0, v5
	v_cndmask_b32_e64 v5, 0, 1, vcc
	v_lshl_or_b32 v5, v5, 9, v2
	v_cmp_eq_u32_e32 vcc, s11, v14
	v_cndmask_b32_e32 v5, v12, v5, vcc
	v_lshrrev_b32_e32 v6, 16, v6
	v_and_or_b32 v14, v6, s14, v5
	v_and_or_b32 v5, v11, s15, v10
	v_cmp_ne_u32_e32 vcc, 0, v5
	v_cndmask_b32_e64 v5, 0, 1, vcc
	v_lshrrev_b32_e32 v6, 8, v11
	v_and_or_b32 v10, v6, s10, v5
	v_bfe_u32 v6, v11, 20, 11
	v_sub_u32_e32 v12, 0x3f1, v6
	v_or_b32_e32 v5, 0x1000, v10
	v_med3_i32 v12, v12, 0, 13
	v_lshrrev_b32_e32 v13, v12, v5
	v_lshlrev_b32_e32 v12, v12, v13
	v_cmp_ne_u32_e32 vcc, v12, v5
	v_cndmask_b32_e64 v5, 0, 1, vcc
	v_add_u32_e32 v17, 0xfffffc10, v6
	v_or_b32_e32 v5, v13, v5
	v_lshl_or_b32 v6, v17, 12, v10
	v_cmp_gt_i32_e32 vcc, 1, v17
	v_cndmask_b32_e32 v5, v6, v5, vcc
	v_and_b32_e32 v6, 7, v5
	v_cmp_lt_i32_e32 vcc, 5, v6
	v_cmp_eq_u32_e64 s[2:3], 3, v6
	v_lshrrev_b32_e32 v12, 2, v5
	ds_read2_b32 v[5:6], v3 offset0:86 offset1:113
	s_or_b64 vcc, s[2:3], vcc
	v_addc_co_u32_e32 v3, vcc, 0, v12, vcc
	v_cmp_gt_i32_e32 vcc, 31, v17
	s_waitcnt lgkmcnt(0)
	v_lshrrev_b32_e32 v18, 16, v5
	v_mul_f16_sdwa v12, v66, v18 dst_sel:DWORD dst_unused:UNUSED_PAD src0_sel:WORD_1 src1_sel:DWORD
	v_fma_f16 v12, v66, v5, v12
	v_cvt_f32_f16_e32 v12, v12
	v_cndmask_b32_e32 v3, v2, v3, vcc
	v_cmp_ne_u32_e32 vcc, 0, v10
	v_cndmask_b32_e64 v10, 0, 1, vcc
	v_cvt_f64_f32_e32 v[12:13], v12
	v_lshl_or_b32 v10, v10, 9, v2
	v_cmp_eq_u32_e32 vcc, s11, v17
	v_cndmask_b32_e32 v3, v3, v10, vcc
	v_lshrrev_b32_e32 v10, 16, v11
	v_and_or_b32 v3, v10, s14, v3
	v_mul_f64 v[10:11], v[12:13], s[12:13]
	v_and_b32_e32 v12, 0xffff, v14
	v_add_co_u32_e32 v8, vcc, s6, v8
	v_lshl_or_b32 v3, v3, 16, v12
	v_addc_co_u32_e32 v9, vcc, v9, v1, vcc
	global_store_dword v[8:9], v3, off
	v_and_or_b32 v3, v11, s15, v10
	v_cmp_ne_u32_e32 vcc, 0, v3
	v_cndmask_b32_e64 v3, 0, 1, vcc
	v_lshrrev_b32_e32 v10, 8, v11
	v_bfe_u32 v12, v11, 20, 11
	v_and_or_b32 v3, v10, s10, v3
	v_sub_u32_e32 v13, 0x3f1, v12
	v_or_b32_e32 v10, 0x1000, v3
	v_med3_i32 v13, v13, 0, 13
	v_lshrrev_b32_e32 v14, v13, v10
	v_lshlrev_b32_e32 v13, v13, v14
	v_cmp_ne_u32_e32 vcc, v13, v10
	v_mul_f16_sdwa v5, v66, v5 dst_sel:DWORD dst_unused:UNUSED_PAD src0_sel:WORD_1 src1_sel:DWORD
	v_cndmask_b32_e64 v10, 0, 1, vcc
	v_fma_f16 v5, v66, v18, -v5
	v_or_b32_e32 v10, v14, v10
	v_add_u32_e32 v14, 0xfffffc10, v12
	v_cvt_f32_f16_e32 v5, v5
	v_lshl_or_b32 v12, v14, 12, v3
	v_cmp_gt_i32_e32 vcc, 1, v14
	v_cndmask_b32_e32 v10, v12, v10, vcc
	v_and_b32_e32 v12, 7, v10
	v_cmp_lt_i32_e32 vcc, 5, v12
	v_cmp_eq_u32_e64 s[2:3], 3, v12
	v_cvt_f64_f32_e32 v[12:13], v5
	v_lshrrev_b32_e32 v10, 2, v10
	s_or_b64 vcc, s[2:3], vcc
	v_addc_co_u32_e32 v5, vcc, 0, v10, vcc
	v_mul_f64 v[12:13], v[12:13], s[12:13]
	v_cmp_gt_i32_e32 vcc, 31, v14
	v_cndmask_b32_e32 v5, v2, v5, vcc
	v_cmp_ne_u32_e32 vcc, 0, v3
	v_cndmask_b32_e64 v3, 0, 1, vcc
	v_lshl_or_b32 v3, v3, 9, v2
	v_cmp_eq_u32_e32 vcc, s11, v14
	v_cndmask_b32_e32 v3, v5, v3, vcc
	v_lshrrev_b32_e32 v5, 16, v11
	v_and_or_b32 v3, v5, s14, v3
	v_and_or_b32 v5, v13, s15, v12
	v_cmp_ne_u32_e32 vcc, 0, v5
	v_cndmask_b32_e64 v5, 0, 1, vcc
	v_lshrrev_b32_e32 v10, 8, v13
	v_bfe_u32 v11, v13, 20, 11
	v_and_or_b32 v5, v10, s10, v5
	v_sub_u32_e32 v12, 0x3f1, v11
	v_or_b32_e32 v10, 0x1000, v5
	v_med3_i32 v12, v12, 0, 13
	v_lshrrev_b32_e32 v14, v12, v10
	v_lshlrev_b32_e32 v12, v12, v14
	v_cmp_ne_u32_e32 vcc, v12, v10
	v_cndmask_b32_e64 v10, 0, 1, vcc
	v_add_u32_e32 v12, 0xfffffc10, v11
	v_or_b32_e32 v10, v14, v10
	v_lshl_or_b32 v11, v12, 12, v5
	v_cmp_gt_i32_e32 vcc, 1, v12
	v_cndmask_b32_e32 v10, v11, v10, vcc
	v_and_b32_e32 v11, 7, v10
	v_cmp_lt_i32_e32 vcc, 5, v11
	v_cmp_eq_u32_e64 s[2:3], 3, v11
	v_lshrrev_b32_e32 v10, 2, v10
	s_or_b64 vcc, s[2:3], vcc
	v_addc_co_u32_e32 v10, vcc, 0, v10, vcc
	v_cmp_gt_i32_e32 vcc, 31, v12
	v_lshrrev_b32_e32 v17, 16, v7
	v_cndmask_b32_e32 v14, v2, v10, vcc
	v_mul_f16_sdwa v10, v65, v17 dst_sel:DWORD dst_unused:UNUSED_PAD src0_sel:WORD_1 src1_sel:DWORD
	v_fma_f16 v10, v65, v7, v10
	v_cvt_f32_f16_e32 v10, v10
	v_cmp_ne_u32_e32 vcc, 0, v5
	v_cndmask_b32_e64 v5, 0, 1, vcc
	v_lshl_or_b32 v5, v5, 9, v2
	v_cvt_f64_f32_e32 v[10:11], v10
	v_cmp_eq_u32_e32 vcc, s11, v12
	v_cndmask_b32_e32 v5, v14, v5, vcc
	v_lshrrev_b32_e32 v12, 16, v13
	v_mul_f64 v[10:11], v[10:11], s[12:13]
	v_and_or_b32 v5, v12, s14, v5
	v_and_b32_e32 v3, 0xffff, v3
	v_add_co_u32_e32 v8, vcc, s6, v8
	v_lshl_or_b32 v3, v5, 16, v3
	v_addc_co_u32_e32 v9, vcc, v9, v1, vcc
	global_store_dword v[8:9], v3, off
	v_and_or_b32 v3, v11, s15, v10
	v_cmp_ne_u32_e32 vcc, 0, v3
	v_cndmask_b32_e64 v3, 0, 1, vcc
	v_lshrrev_b32_e32 v5, 8, v11
	v_bfe_u32 v10, v11, 20, 11
	v_and_or_b32 v3, v5, s10, v3
	v_sub_u32_e32 v12, 0x3f1, v10
	v_or_b32_e32 v5, 0x1000, v3
	v_med3_i32 v12, v12, 0, 13
	v_lshrrev_b32_e32 v13, v12, v5
	v_lshlrev_b32_e32 v12, v12, v13
	v_mul_f16_sdwa v7, v65, v7 dst_sel:DWORD dst_unused:UNUSED_PAD src0_sel:WORD_1 src1_sel:DWORD
	v_cmp_ne_u32_e32 vcc, v12, v5
	v_fma_f16 v7, v65, v17, -v7
	v_cndmask_b32_e64 v5, 0, 1, vcc
	v_add_u32_e32 v10, 0xfffffc10, v10
	v_cvt_f32_f16_e32 v7, v7
	v_or_b32_e32 v5, v13, v5
	v_lshl_or_b32 v12, v10, 12, v3
	v_cmp_gt_i32_e32 vcc, 1, v10
	v_cndmask_b32_e32 v5, v12, v5, vcc
	v_and_b32_e32 v12, 7, v5
	v_cmp_lt_i32_e32 vcc, 5, v12
	v_cmp_eq_u32_e64 s[2:3], 3, v12
	v_cvt_f64_f32_e32 v[12:13], v7
	v_lshrrev_b32_e32 v5, 2, v5
	s_or_b64 vcc, s[2:3], vcc
	v_addc_co_u32_e32 v5, vcc, 0, v5, vcc
	v_mul_f64 v[12:13], v[12:13], s[12:13]
	v_cmp_gt_i32_e32 vcc, 31, v10
	v_cndmask_b32_e32 v5, v2, v5, vcc
	v_cmp_ne_u32_e32 vcc, 0, v3
	v_cndmask_b32_e64 v3, 0, 1, vcc
	v_lshl_or_b32 v3, v3, 9, v2
	v_cmp_eq_u32_e32 vcc, s11, v10
	v_cndmask_b32_e32 v3, v5, v3, vcc
	v_lshrrev_b32_e32 v5, 16, v11
	v_and_or_b32 v3, v5, s14, v3
	v_and_or_b32 v5, v13, s15, v12
	v_cmp_ne_u32_e32 vcc, 0, v5
	v_cndmask_b32_e64 v5, 0, 1, vcc
	v_lshrrev_b32_e32 v7, 8, v13
	v_bfe_u32 v10, v13, 20, 11
	v_and_or_b32 v5, v7, s10, v5
	v_sub_u32_e32 v11, 0x3f1, v10
	v_or_b32_e32 v7, 0x1000, v5
	v_med3_i32 v11, v11, 0, 13
	v_lshrrev_b32_e32 v12, v11, v7
	v_lshlrev_b32_e32 v11, v11, v12
	v_cmp_ne_u32_e32 vcc, v11, v7
	v_cndmask_b32_e64 v7, 0, 1, vcc
	v_or_b32_e32 v7, v12, v7
	v_add_u32_e32 v12, 0xfffffc10, v10
	v_lshl_or_b32 v10, v12, 12, v5
	v_cmp_gt_i32_e32 vcc, 1, v12
	v_cndmask_b32_e32 v7, v10, v7, vcc
	v_and_b32_e32 v10, 7, v7
	v_cmp_lt_i32_e32 vcc, 5, v10
	v_cmp_eq_u32_e64 s[2:3], 3, v10
	ds_read2_b32 v[10:11], v59 offset0:225 offset1:252
	v_lshrrev_b32_e32 v7, 2, v7
	s_or_b64 vcc, s[2:3], vcc
	v_addc_co_u32_e32 v7, vcc, 0, v7, vcc
	s_waitcnt lgkmcnt(0)
	v_lshrrev_b32_e32 v14, 16, v10
	v_mul_f16_sdwa v17, v64, v14 dst_sel:DWORD dst_unused:UNUSED_PAD src0_sel:WORD_1 src1_sel:DWORD
	v_fma_f16 v17, v64, v10, v17
	v_cvt_f32_f16_e32 v17, v17
	v_cmp_gt_i32_e32 vcc, 31, v12
	v_cndmask_b32_e32 v7, v2, v7, vcc
	v_cmp_ne_u32_e32 vcc, 0, v5
	v_cvt_f64_f32_e32 v[17:18], v17
	v_cndmask_b32_e64 v5, 0, 1, vcc
	v_lshl_or_b32 v5, v5, 9, v2
	v_cmp_eq_u32_e32 vcc, s11, v12
	v_cndmask_b32_e32 v5, v7, v5, vcc
	v_lshrrev_b32_e32 v7, 16, v13
	v_mul_f64 v[12:13], v[17:18], s[12:13]
	v_and_or_b32 v5, v7, s14, v5
	v_and_b32_e32 v3, 0xffff, v3
	v_add_co_u32_e32 v7, vcc, s4, v8
	v_lshl_or_b32 v3, v5, 16, v3
	v_addc_co_u32_e32 v8, vcc, v9, v4, vcc
	global_store_dword v[7:8], v3, off
	v_and_or_b32 v3, v13, s15, v12
	v_cmp_ne_u32_e32 vcc, 0, v3
	v_cndmask_b32_e64 v3, 0, 1, vcc
	v_lshrrev_b32_e32 v5, 8, v13
	v_bfe_u32 v9, v13, 20, 11
	v_and_or_b32 v3, v5, s10, v3
	v_sub_u32_e32 v12, 0x3f1, v9
	v_or_b32_e32 v5, 0x1000, v3
	v_med3_i32 v12, v12, 0, 13
	v_lshrrev_b32_e32 v17, v12, v5
	v_lshlrev_b32_e32 v12, v12, v17
	v_mul_f16_sdwa v10, v64, v10 dst_sel:DWORD dst_unused:UNUSED_PAD src0_sel:WORD_1 src1_sel:DWORD
	v_cmp_ne_u32_e32 vcc, v12, v5
	v_fma_f16 v10, v64, v14, -v10
	v_cndmask_b32_e64 v5, 0, 1, vcc
	v_add_u32_e32 v12, 0xfffffc10, v9
	v_cvt_f32_f16_e32 v10, v10
	v_or_b32_e32 v5, v17, v5
	v_lshl_or_b32 v9, v12, 12, v3
	v_cmp_gt_i32_e32 vcc, 1, v12
	v_cndmask_b32_e32 v5, v9, v5, vcc
	v_and_b32_e32 v9, 7, v5
	v_cmp_lt_i32_e32 vcc, 5, v9
	v_cmp_eq_u32_e64 s[2:3], 3, v9
	v_cvt_f64_f32_e32 v[9:10], v10
	v_lshrrev_b32_e32 v5, 2, v5
	s_or_b64 vcc, s[2:3], vcc
	v_addc_co_u32_e32 v5, vcc, 0, v5, vcc
	v_mul_f64 v[9:10], v[9:10], s[12:13]
	v_cmp_gt_i32_e32 vcc, 31, v12
	v_cndmask_b32_e32 v5, v2, v5, vcc
	v_cmp_ne_u32_e32 vcc, 0, v3
	v_cndmask_b32_e64 v3, 0, 1, vcc
	v_lshl_or_b32 v3, v3, 9, v2
	v_cmp_eq_u32_e32 vcc, s11, v12
	v_cndmask_b32_e32 v3, v5, v3, vcc
	v_lshrrev_b32_e32 v5, 16, v13
	v_and_or_b32 v3, v5, s14, v3
	v_and_or_b32 v5, v10, s15, v9
	v_cmp_ne_u32_e32 vcc, 0, v5
	v_cndmask_b32_e64 v5, 0, 1, vcc
	v_lshrrev_b32_e32 v9, 8, v10
	v_bfe_u32 v12, v10, 20, 11
	v_and_or_b32 v5, v9, s10, v5
	v_sub_u32_e32 v13, 0x3f1, v12
	v_or_b32_e32 v9, 0x1000, v5
	v_med3_i32 v13, v13, 0, 13
	v_lshrrev_b32_e32 v14, v13, v9
	v_lshlrev_b32_e32 v13, v13, v14
	v_cmp_ne_u32_e32 vcc, v13, v9
	v_cndmask_b32_e64 v9, 0, 1, vcc
	v_or_b32_e32 v9, v14, v9
	v_add_u32_e32 v14, 0xfffffc10, v12
	v_lshl_or_b32 v12, v14, 12, v5
	v_cmp_gt_i32_e32 vcc, 1, v14
	v_cndmask_b32_e32 v9, v12, v9, vcc
	v_and_b32_e32 v12, 7, v9
	v_lshrrev_b32_e32 v17, 16, v6
	v_cmp_lt_i32_e32 vcc, 5, v12
	v_cmp_eq_u32_e64 s[2:3], 3, v12
	v_mul_f16_sdwa v12, v63, v17 dst_sel:DWORD dst_unused:UNUSED_PAD src0_sel:WORD_1 src1_sel:DWORD
	v_fma_f16 v12, v63, v6, v12
	v_cvt_f32_f16_e32 v12, v12
	v_lshrrev_b32_e32 v9, 2, v9
	s_or_b64 vcc, s[2:3], vcc
	v_addc_co_u32_e32 v9, vcc, 0, v9, vcc
	v_cmp_gt_i32_e32 vcc, 31, v14
	v_cndmask_b32_e32 v9, v2, v9, vcc
	v_cmp_ne_u32_e32 vcc, 0, v5
	v_cvt_f64_f32_e32 v[12:13], v12
	v_cndmask_b32_e64 v5, 0, 1, vcc
	v_lshl_or_b32 v5, v5, 9, v2
	v_cmp_eq_u32_e32 vcc, s11, v14
	v_cndmask_b32_e32 v5, v9, v5, vcc
	v_lshrrev_b32_e32 v9, 16, v10
	v_and_or_b32 v5, v9, s14, v5
	v_mul_f64 v[9:10], v[12:13], s[12:13]
	v_and_b32_e32 v3, 0xffff, v3
	v_add_co_u32_e32 v7, vcc, s6, v7
	v_lshl_or_b32 v3, v5, 16, v3
	v_addc_co_u32_e32 v8, vcc, v8, v1, vcc
	global_store_dword v[7:8], v3, off
	v_and_or_b32 v3, v10, s15, v9
	v_cmp_ne_u32_e32 vcc, 0, v3
	v_cndmask_b32_e64 v3, 0, 1, vcc
	v_lshrrev_b32_e32 v5, 8, v10
	v_bfe_u32 v9, v10, 20, 11
	v_and_or_b32 v3, v5, s10, v3
	v_sub_u32_e32 v12, 0x3f1, v9
	v_or_b32_e32 v5, 0x1000, v3
	v_med3_i32 v12, v12, 0, 13
	v_lshrrev_b32_e32 v13, v12, v5
	v_lshlrev_b32_e32 v12, v12, v13
	v_mul_f16_sdwa v6, v63, v6 dst_sel:DWORD dst_unused:UNUSED_PAD src0_sel:WORD_1 src1_sel:DWORD
	v_cmp_ne_u32_e32 vcc, v12, v5
	v_fma_f16 v6, v63, v17, -v6
	v_cndmask_b32_e64 v5, 0, 1, vcc
	v_add_u32_e32 v9, 0xfffffc10, v9
	v_cvt_f32_f16_e32 v6, v6
	v_or_b32_e32 v5, v13, v5
	v_lshl_or_b32 v12, v9, 12, v3
	v_cmp_gt_i32_e32 vcc, 1, v9
	v_cndmask_b32_e32 v5, v12, v5, vcc
	v_and_b32_e32 v12, 7, v5
	v_cmp_lt_i32_e32 vcc, 5, v12
	v_cmp_eq_u32_e64 s[2:3], 3, v12
	v_lshrrev_b32_e32 v12, 2, v5
	v_cvt_f64_f32_e32 v[5:6], v6
	s_or_b64 vcc, s[2:3], vcc
	v_addc_co_u32_e32 v12, vcc, 0, v12, vcc
	v_mul_f64 v[5:6], v[5:6], s[12:13]
	v_cmp_gt_i32_e32 vcc, 31, v9
	v_cndmask_b32_e32 v12, v2, v12, vcc
	v_cmp_ne_u32_e32 vcc, 0, v3
	v_cndmask_b32_e64 v3, 0, 1, vcc
	v_lshl_or_b32 v3, v3, 9, v2
	v_cmp_eq_u32_e32 vcc, s11, v9
	v_cndmask_b32_e32 v3, v12, v3, vcc
	v_and_or_b32 v5, v6, s15, v5
	v_lshrrev_b32_e32 v9, 16, v10
	v_cmp_ne_u32_e32 vcc, 0, v5
	v_and_or_b32 v3, v9, s14, v3
	v_cndmask_b32_e64 v5, 0, 1, vcc
	v_lshrrev_b32_e32 v9, 8, v6
	v_bfe_u32 v10, v6, 20, 11
	v_and_or_b32 v5, v9, s10, v5
	v_sub_u32_e32 v12, 0x3f1, v10
	v_or_b32_e32 v9, 0x1000, v5
	v_med3_i32 v12, v12, 0, 13
	v_lshrrev_b32_e32 v13, v12, v9
	v_lshlrev_b32_e32 v12, v12, v13
	v_cmp_ne_u32_e32 vcc, v12, v9
	v_cndmask_b32_e64 v9, 0, 1, vcc
	v_add_u32_e32 v12, 0xfffffc10, v10
	v_or_b32_e32 v9, v13, v9
	v_lshl_or_b32 v10, v12, 12, v5
	v_cmp_gt_i32_e32 vcc, 1, v12
	v_cndmask_b32_e32 v9, v10, v9, vcc
	v_and_b32_e32 v10, 7, v9
	v_cmp_lt_i32_e32 vcc, 5, v10
	v_cmp_eq_u32_e64 s[2:3], 3, v10
	v_lshrrev_b32_e32 v9, 2, v9
	s_or_b64 vcc, s[2:3], vcc
	v_addc_co_u32_e32 v9, vcc, 0, v9, vcc
	v_cmp_gt_i32_e32 vcc, 31, v12
	v_lshrrev_b32_e32 v14, 16, v0
	v_cndmask_b32_e32 v13, v2, v9, vcc
	v_mul_f16_sdwa v9, v62, v14 dst_sel:DWORD dst_unused:UNUSED_PAD src0_sel:WORD_1 src1_sel:DWORD
	v_fma_f16 v9, v62, v0, v9
	v_cvt_f32_f16_e32 v9, v9
	v_cmp_ne_u32_e32 vcc, 0, v5
	v_cndmask_b32_e64 v5, 0, 1, vcc
	v_lshl_or_b32 v5, v5, 9, v2
	v_cvt_f64_f32_e32 v[9:10], v9
	v_cmp_eq_u32_e32 vcc, s11, v12
	v_cndmask_b32_e32 v5, v13, v5, vcc
	v_lshrrev_b32_e32 v6, 16, v6
	v_and_or_b32 v12, v6, s14, v5
	v_mul_f64 v[5:6], v[9:10], s[12:13]
	v_and_b32_e32 v3, 0xffff, v3
	v_add_co_u32_e32 v7, vcc, s6, v7
	v_lshl_or_b32 v3, v12, 16, v3
	v_addc_co_u32_e32 v8, vcc, v8, v1, vcc
	global_store_dword v[7:8], v3, off
	v_and_or_b32 v3, v6, s15, v5
	v_cmp_ne_u32_e32 vcc, 0, v3
	v_cndmask_b32_e64 v3, 0, 1, vcc
	v_lshrrev_b32_e32 v5, 8, v6
	v_bfe_u32 v9, v6, 20, 11
	v_and_or_b32 v3, v5, s10, v3
	v_sub_u32_e32 v10, 0x3f1, v9
	v_or_b32_e32 v5, 0x1000, v3
	v_med3_i32 v10, v10, 0, 13
	v_lshrrev_b32_e32 v12, v10, v5
	v_lshlrev_b32_e32 v10, v10, v12
	v_cmp_ne_u32_e32 vcc, v10, v5
	v_mul_f16_sdwa v0, v62, v0 dst_sel:DWORD dst_unused:UNUSED_PAD src0_sel:WORD_1 src1_sel:DWORD
	v_cndmask_b32_e64 v5, 0, 1, vcc
	v_fma_f16 v0, v62, v14, -v0
	v_or_b32_e32 v5, v12, v5
	v_add_u32_e32 v12, 0xfffffc10, v9
	v_cvt_f32_f16_e32 v0, v0
	v_lshl_or_b32 v9, v12, 12, v3
	v_cmp_gt_i32_e32 vcc, 1, v12
	v_cndmask_b32_e32 v5, v9, v5, vcc
	v_and_b32_e32 v9, 7, v5
	v_cmp_lt_i32_e32 vcc, 5, v9
	v_cmp_eq_u32_e64 s[2:3], 3, v9
	v_cvt_f64_f32_e32 v[9:10], v0
	v_lshrrev_b32_e32 v5, 2, v5
	s_or_b64 vcc, s[2:3], vcc
	v_addc_co_u32_e32 v0, vcc, 0, v5, vcc
	v_mul_f64 v[9:10], v[9:10], s[12:13]
	v_cmp_gt_i32_e32 vcc, 31, v12
	v_cndmask_b32_e32 v0, v2, v0, vcc
	v_cmp_ne_u32_e32 vcc, 0, v3
	v_cndmask_b32_e64 v3, 0, 1, vcc
	v_lshl_or_b32 v3, v3, 9, v2
	v_cmp_eq_u32_e32 vcc, s11, v12
	v_cndmask_b32_e32 v0, v0, v3, vcc
	v_lshrrev_b32_e32 v3, 16, v6
	v_and_or_b32 v0, v3, s14, v0
	v_and_or_b32 v3, v10, s15, v9
	v_cmp_ne_u32_e32 vcc, 0, v3
	v_cndmask_b32_e64 v3, 0, 1, vcc
	v_lshrrev_b32_e32 v5, 8, v10
	v_bfe_u32 v6, v10, 20, 11
	v_and_or_b32 v3, v5, s10, v3
	v_sub_u32_e32 v9, 0x3f1, v6
	v_or_b32_e32 v5, 0x1000, v3
	v_med3_i32 v9, v9, 0, 13
	v_lshrrev_b32_e32 v12, v9, v5
	v_lshlrev_b32_e32 v9, v9, v12
	v_cmp_ne_u32_e32 vcc, v9, v5
	v_cndmask_b32_e64 v5, 0, 1, vcc
	v_add_u32_e32 v9, 0xfffffc10, v6
	v_or_b32_e32 v5, v12, v5
	v_lshl_or_b32 v6, v9, 12, v3
	v_cmp_gt_i32_e32 vcc, 1, v9
	v_cndmask_b32_e32 v5, v6, v5, vcc
	v_and_b32_e32 v6, 7, v5
	v_cmp_lt_i32_e32 vcc, 5, v6
	v_cmp_eq_u32_e64 s[2:3], 3, v6
	v_lshrrev_b32_e32 v5, 2, v5
	s_or_b64 vcc, s[2:3], vcc
	v_addc_co_u32_e32 v5, vcc, 0, v5, vcc
	v_cmp_gt_i32_e32 vcc, 31, v9
	v_lshrrev_b32_e32 v13, 16, v11
	v_cndmask_b32_e32 v12, v2, v5, vcc
	v_mul_f16_sdwa v5, v61, v13 dst_sel:DWORD dst_unused:UNUSED_PAD src0_sel:WORD_1 src1_sel:DWORD
	v_fma_f16 v5, v61, v11, v5
	v_cvt_f32_f16_e32 v5, v5
	v_cmp_ne_u32_e32 vcc, 0, v3
	v_cndmask_b32_e64 v3, 0, 1, vcc
	v_lshl_or_b32 v3, v3, 9, v2
	v_cvt_f64_f32_e32 v[5:6], v5
	v_cmp_eq_u32_e32 vcc, s11, v9
	v_cndmask_b32_e32 v3, v12, v3, vcc
	v_lshrrev_b32_e32 v9, 16, v10
	v_mul_f64 v[5:6], v[5:6], s[12:13]
	v_and_or_b32 v3, v9, s14, v3
	v_and_b32_e32 v0, 0xffff, v0
	v_lshl_or_b32 v0, v3, 16, v0
	v_add_co_u32_e32 v3, vcc, s4, v7
	v_addc_co_u32_e32 v4, vcc, v8, v4, vcc
	global_store_dword v[3:4], v0, off
	v_and_or_b32 v0, v6, s15, v5
	v_cmp_ne_u32_e32 vcc, 0, v0
	v_cndmask_b32_e64 v0, 0, 1, vcc
	v_lshrrev_b32_e32 v5, 8, v6
	v_bfe_u32 v7, v6, 20, 11
	v_and_or_b32 v0, v5, s10, v0
	v_sub_u32_e32 v8, 0x3f1, v7
	v_or_b32_e32 v5, 0x1000, v0
	v_med3_i32 v8, v8, 0, 13
	v_lshrrev_b32_e32 v9, v8, v5
	v_lshlrev_b32_e32 v8, v8, v9
	v_cmp_ne_u32_e32 vcc, v8, v5
	v_mul_f16_sdwa v8, v61, v11 dst_sel:DWORD dst_unused:UNUSED_PAD src0_sel:WORD_1 src1_sel:DWORD
	v_cndmask_b32_e64 v5, 0, 1, vcc
	v_fma_f16 v8, v61, v13, -v8
	v_or_b32_e32 v5, v9, v5
	v_add_u32_e32 v9, 0xfffffc10, v7
	v_cvt_f32_f16_e32 v8, v8
	v_lshl_or_b32 v7, v9, 12, v0
	v_cmp_gt_i32_e32 vcc, 1, v9
	v_cndmask_b32_e32 v5, v7, v5, vcc
	v_and_b32_e32 v7, 7, v5
	v_cmp_lt_i32_e32 vcc, 5, v7
	v_cmp_eq_u32_e64 s[2:3], 3, v7
	v_cvt_f64_f32_e32 v[7:8], v8
	v_lshrrev_b32_e32 v5, 2, v5
	s_or_b64 vcc, s[2:3], vcc
	v_addc_co_u32_e32 v5, vcc, 0, v5, vcc
	v_mul_f64 v[7:8], v[7:8], s[12:13]
	v_cmp_gt_i32_e32 vcc, 31, v9
	v_cndmask_b32_e32 v5, v2, v5, vcc
	v_cmp_ne_u32_e32 vcc, 0, v0
	v_cndmask_b32_e64 v0, 0, 1, vcc
	v_lshl_or_b32 v0, v0, 9, v2
	v_cmp_eq_u32_e32 vcc, s11, v9
	v_cndmask_b32_e32 v0, v5, v0, vcc
	v_lshrrev_b32_e32 v5, 16, v6
	v_and_or_b32 v0, v5, s14, v0
	v_and_or_b32 v5, v8, s15, v7
	v_cmp_ne_u32_e32 vcc, 0, v5
	v_cndmask_b32_e64 v5, 0, 1, vcc
	v_lshrrev_b32_e32 v6, 8, v8
	v_bfe_u32 v7, v8, 20, 11
	v_and_or_b32 v5, v6, s10, v5
	v_sub_u32_e32 v9, 0x3f1, v7
	v_or_b32_e32 v6, 0x1000, v5
	v_med3_i32 v9, v9, 0, 13
	v_lshrrev_b32_e32 v10, v9, v6
	v_lshlrev_b32_e32 v9, v9, v10
	v_cmp_ne_u32_e32 vcc, v9, v6
	v_cndmask_b32_e64 v6, 0, 1, vcc
	v_add_u32_e32 v7, 0xfffffc10, v7
	v_or_b32_e32 v6, v10, v6
	v_lshl_or_b32 v9, v7, 12, v5
	v_cmp_gt_i32_e32 vcc, 1, v7
	v_cndmask_b32_e32 v6, v9, v6, vcc
	v_and_b32_e32 v9, 7, v6
	v_cmp_lt_i32_e32 vcc, 5, v9
	v_cmp_eq_u32_e64 s[2:3], 3, v9
	ds_read_b32 v9, v59 offset:1584
	v_lshrrev_b32_e32 v6, 2, v6
	s_or_b64 vcc, s[2:3], vcc
	v_addc_co_u32_e32 v6, vcc, 0, v6, vcc
	v_cmp_gt_i32_e32 vcc, 31, v7
	s_waitcnt lgkmcnt(0)
	v_lshrrev_b32_e32 v11, 16, v9
	v_cndmask_b32_e32 v10, v2, v6, vcc
	v_mul_f16_sdwa v6, v60, v11 dst_sel:DWORD dst_unused:UNUSED_PAD src0_sel:WORD_1 src1_sel:DWORD
	v_fma_f16 v6, v60, v9, v6
	v_cvt_f32_f16_e32 v6, v6
	v_cmp_ne_u32_e32 vcc, 0, v5
	v_cndmask_b32_e64 v5, 0, 1, vcc
	v_lshl_or_b32 v12, v5, 9, v2
	v_cvt_f64_f32_e32 v[5:6], v6
	v_cmp_eq_u32_e32 vcc, s11, v7
	v_cndmask_b32_e32 v7, v10, v12, vcc
	v_lshrrev_b32_e32 v8, 16, v8
	v_mul_f64 v[5:6], v[5:6], s[12:13]
	v_and_or_b32 v7, v8, s14, v7
	v_and_b32_e32 v0, 0xffff, v0
	v_add_co_u32_e32 v3, vcc, s6, v3
	v_lshl_or_b32 v0, v7, 16, v0
	v_addc_co_u32_e32 v4, vcc, v4, v1, vcc
	global_store_dword v[3:4], v0, off
	v_and_or_b32 v0, v6, s15, v5
	v_cmp_ne_u32_e32 vcc, 0, v0
	v_cndmask_b32_e64 v0, 0, 1, vcc
	v_lshrrev_b32_e32 v5, 8, v6
	v_bfe_u32 v7, v6, 20, 11
	v_and_or_b32 v0, v5, s10, v0
	v_sub_u32_e32 v8, 0x3f1, v7
	v_or_b32_e32 v5, 0x1000, v0
	v_med3_i32 v8, v8, 0, 13
	v_lshrrev_b32_e32 v10, v8, v5
	v_lshlrev_b32_e32 v8, v8, v10
	v_cmp_ne_u32_e32 vcc, v8, v5
	v_mul_f16_sdwa v8, v60, v9 dst_sel:DWORD dst_unused:UNUSED_PAD src0_sel:WORD_1 src1_sel:DWORD
	v_cndmask_b32_e64 v5, 0, 1, vcc
	v_fma_f16 v8, v60, v11, -v8
	v_or_b32_e32 v5, v10, v5
	v_add_u32_e32 v10, 0xfffffc10, v7
	v_cvt_f32_f16_e32 v8, v8
	v_lshl_or_b32 v7, v10, 12, v0
	v_cmp_gt_i32_e32 vcc, 1, v10
	v_cndmask_b32_e32 v5, v7, v5, vcc
	v_and_b32_e32 v7, 7, v5
	v_cmp_lt_i32_e32 vcc, 5, v7
	v_cmp_eq_u32_e64 s[2:3], 3, v7
	v_cvt_f64_f32_e32 v[7:8], v8
	v_lshrrev_b32_e32 v5, 2, v5
	s_or_b64 vcc, s[2:3], vcc
	v_addc_co_u32_e32 v5, vcc, 0, v5, vcc
	v_mul_f64 v[7:8], v[7:8], s[12:13]
	v_cmp_gt_i32_e32 vcc, 31, v10
	v_cndmask_b32_e32 v5, v2, v5, vcc
	v_cmp_ne_u32_e32 vcc, 0, v0
	v_cndmask_b32_e64 v0, 0, 1, vcc
	v_lshl_or_b32 v0, v0, 9, v2
	v_cmp_eq_u32_e32 vcc, s11, v10
	v_cndmask_b32_e32 v0, v5, v0, vcc
	v_lshrrev_b32_e32 v5, 16, v6
	v_and_or_b32 v0, v5, s14, v0
	v_and_or_b32 v5, v8, s15, v7
	v_cmp_ne_u32_e32 vcc, 0, v5
	v_cndmask_b32_e64 v5, 0, 1, vcc
	v_lshrrev_b32_e32 v6, 8, v8
	v_bfe_u32 v7, v8, 20, 11
	v_and_or_b32 v5, v6, s10, v5
	v_sub_u32_e32 v9, 0x3f1, v7
	v_or_b32_e32 v6, 0x1000, v5
	v_med3_i32 v9, v9, 0, 13
	v_lshrrev_b32_e32 v10, v9, v6
	v_lshlrev_b32_e32 v9, v9, v10
	v_cmp_ne_u32_e32 vcc, v9, v6
	v_cndmask_b32_e64 v6, 0, 1, vcc
	v_add_u32_e32 v7, 0xfffffc10, v7
	v_or_b32_e32 v6, v10, v6
	v_lshl_or_b32 v9, v7, 12, v5
	v_cmp_gt_i32_e32 vcc, 1, v7
	v_cndmask_b32_e32 v6, v9, v6, vcc
	v_and_b32_e32 v9, 7, v6
	v_cmp_lt_i32_e32 vcc, 5, v9
	v_cmp_eq_u32_e64 s[2:3], 3, v9
	v_lshrrev_b32_e32 v6, 2, v6
	s_or_b64 vcc, s[2:3], vcc
	v_addc_co_u32_e32 v6, vcc, 0, v6, vcc
	v_cmp_gt_i32_e32 vcc, 31, v7
	v_cndmask_b32_e32 v6, v2, v6, vcc
	v_cmp_ne_u32_e32 vcc, 0, v5
	v_cndmask_b32_e64 v5, 0, 1, vcc
	v_lshl_or_b32 v5, v5, 9, v2
	v_cmp_eq_u32_e32 vcc, s11, v7
	v_cndmask_b32_e32 v5, v6, v5, vcc
	v_lshrrev_b32_e32 v6, 16, v8
	v_and_or_b32 v5, v6, s14, v5
	v_and_b32_e32 v0, 0xffff, v0
	v_lshl_or_b32 v5, v5, 16, v0
	v_add_co_u32_e32 v0, vcc, s6, v3
	v_addc_co_u32_e32 v1, vcc, v4, v1, vcc
	global_store_dword v[0:1], v5, off
	s_and_b64 exec, exec, s[0:1]
	s_cbranch_execz .LBB0_31
; %bb.30:
	global_load_dword v5, v[15:16], off offset:540
	v_add_u32_e32 v3, 0x200, v59
	ds_read2_b32 v[3:4], v3 offset0:7 offset1:151
	v_add_co_u32_e32 v0, vcc, s4, v0
	s_waitcnt lgkmcnt(0)
	v_lshrrev_b32_e32 v6, 16, v3
	s_waitcnt vmcnt(0)
	v_mul_f16_sdwa v7, v6, v5 dst_sel:DWORD dst_unused:UNUSED_PAD src0_sel:DWORD src1_sel:WORD_1
	v_fma_f16 v7, v3, v5, v7
	v_mul_f16_sdwa v3, v3, v5 dst_sel:DWORD dst_unused:UNUSED_PAD src0_sel:DWORD src1_sel:WORD_1
	v_cvt_f32_f16_e32 v7, v7
	v_fma_f16 v3, v5, v6, -v3
	v_cvt_f32_f16_e32 v3, v3
	v_cvt_f64_f32_e32 v[5:6], v7
	v_cvt_f64_f32_e32 v[7:8], v3
	v_mov_b32_e32 v3, s5
	v_mul_f64 v[5:6], v[5:6], s[12:13]
	v_addc_co_u32_e32 v1, vcc, v1, v3, vcc
	v_mul_f64 v[7:8], v[7:8], s[12:13]
	v_and_or_b32 v3, v6, s15, v5
	v_cmp_ne_u32_e32 vcc, 0, v3
	v_lshrrev_b32_e32 v5, 8, v6
	v_and_or_b32 v7, v8, s15, v7
	v_bfe_u32 v9, v6, 20, 11
	v_cndmask_b32_e64 v3, 0, 1, vcc
	v_cmp_ne_u32_e32 vcc, 0, v7
	v_lshrrev_b32_e32 v10, 8, v8
	v_bfe_u32 v11, v8, 20, 11
	v_sub_u32_e32 v12, 0x3f1, v9
	v_cndmask_b32_e64 v7, 0, 1, vcc
	v_and_or_b32 v3, v5, s10, v3
	v_sub_u32_e32 v13, 0x3f1, v11
	v_med3_i32 v5, v12, 0, 13
	v_and_or_b32 v7, v10, s10, v7
	v_or_b32_e32 v12, 0x1000, v3
	v_add_u32_e32 v9, 0xfffffc10, v9
	v_med3_i32 v10, v13, 0, 13
	v_cmp_ne_u32_e32 vcc, 0, v3
	v_or_b32_e32 v14, 0x1000, v7
	v_lshrrev_b32_e32 v18, v5, v12
	v_add_u32_e32 v11, 0xfffffc10, v11
	v_lshl_or_b32 v13, v9, 12, v3
	v_cndmask_b32_e64 v3, 0, 1, vcc
	v_cmp_ne_u32_e32 vcc, 0, v7
	v_lshrrev_b32_e32 v19, v10, v14
	v_lshlrev_b32_e32 v5, v5, v18
	v_lshl_or_b32 v17, v11, 12, v7
	v_cndmask_b32_e64 v7, 0, 1, vcc
	v_lshlrev_b32_e32 v10, v10, v19
	v_cmp_ne_u32_e32 vcc, v5, v12
	v_cndmask_b32_e64 v5, 0, 1, vcc
	v_cmp_ne_u32_e32 vcc, v10, v14
	v_cndmask_b32_e64 v10, 0, 1, vcc
	v_or_b32_e32 v5, v18, v5
	v_cmp_gt_i32_e32 vcc, 1, v9
	v_cndmask_b32_e32 v5, v13, v5, vcc
	v_or_b32_e32 v10, v19, v10
	v_cmp_gt_i32_e32 vcc, 1, v11
	v_and_b32_e32 v12, 7, v5
	v_cndmask_b32_e32 v10, v17, v10, vcc
	v_cmp_lt_i32_e32 vcc, 5, v12
	v_cmp_eq_u32_e64 s[0:1], 3, v12
	v_lshrrev_b32_e32 v5, 2, v5
	v_and_b32_e32 v13, 7, v10
	s_or_b64 vcc, s[0:1], vcc
	v_cmp_lt_i32_e64 s[2:3], 5, v13
	v_cmp_eq_u32_e64 s[4:5], 3, v13
	v_addc_co_u32_e32 v5, vcc, 0, v5, vcc
	v_lshrrev_b32_e32 v10, 2, v10
	s_or_b64 vcc, s[4:5], s[2:3]
	v_addc_co_u32_e32 v10, vcc, 0, v10, vcc
	v_cmp_gt_i32_e32 vcc, 31, v9
	v_cndmask_b32_e32 v5, v2, v5, vcc
	v_cmp_gt_i32_e32 vcc, 31, v11
	v_lshl_or_b32 v3, v3, 9, v2
	v_cndmask_b32_e32 v10, v2, v10, vcc
	v_cmp_eq_u32_e32 vcc, s11, v9
	v_lshrrev_b32_e32 v6, 16, v6
	v_lshl_or_b32 v7, v7, 9, v2
	v_cndmask_b32_e32 v3, v5, v3, vcc
	v_cmp_eq_u32_e32 vcc, s11, v11
	v_lshrrev_b32_e32 v8, 16, v8
	v_cndmask_b32_e32 v5, v10, v7, vcc
	v_and_or_b32 v3, v6, s14, v3
	v_and_or_b32 v5, v8, s14, v5
	v_and_b32_e32 v3, 0xffff, v3
	v_lshl_or_b32 v3, v5, 16, v3
	global_store_dword v[0:1], v3, off
	global_load_dword v3, v[15:16], off offset:1116
	v_lshrrev_b32_e32 v5, 16, v4
	v_mov_b32_e32 v7, s7
	v_add_co_u32_e32 v0, vcc, s6, v0
	v_addc_co_u32_e32 v1, vcc, v1, v7, vcc
	s_waitcnt vmcnt(0)
	v_mul_f16_sdwa v6, v5, v3 dst_sel:DWORD dst_unused:UNUSED_PAD src0_sel:DWORD src1_sel:WORD_1
	v_fma_f16 v6, v4, v3, v6
	v_mul_f16_sdwa v4, v4, v3 dst_sel:DWORD dst_unused:UNUSED_PAD src0_sel:DWORD src1_sel:WORD_1
	v_cvt_f32_f16_e32 v6, v6
	v_fma_f16 v3, v3, v5, -v4
	v_cvt_f32_f16_e32 v5, v3
	v_cvt_f64_f32_e32 v[3:4], v6
	v_cvt_f64_f32_e32 v[5:6], v5
	v_mul_f64 v[3:4], v[3:4], s[12:13]
	v_mul_f64 v[5:6], v[5:6], s[12:13]
	v_and_or_b32 v3, v4, s15, v3
	v_cmp_ne_u32_e32 vcc, 0, v3
	v_and_or_b32 v5, v6, s15, v5
	v_lshrrev_b32_e32 v8, 8, v4
	v_bfe_u32 v9, v4, 20, 11
	v_cndmask_b32_e64 v3, 0, 1, vcc
	v_cmp_ne_u32_e32 vcc, 0, v5
	v_lshrrev_b32_e32 v10, 8, v6
	v_bfe_u32 v11, v6, 20, 11
	v_sub_u32_e32 v12, 0x3f1, v9
	v_cndmask_b32_e64 v5, 0, 1, vcc
	v_and_or_b32 v3, v8, s10, v3
	v_sub_u32_e32 v13, 0x3f1, v11
	v_med3_i32 v8, v12, 0, 13
	v_and_or_b32 v5, v10, s10, v5
	v_or_b32_e32 v12, 0x1000, v3
	v_add_u32_e32 v9, 0xfffffc10, v9
	v_med3_i32 v10, v13, 0, 13
	v_cmp_ne_u32_e32 vcc, 0, v3
	v_or_b32_e32 v14, 0x1000, v5
	v_lshrrev_b32_e32 v18, v8, v12
	v_add_u32_e32 v11, 0xfffffc10, v11
	v_lshl_or_b32 v13, v9, 12, v3
	v_cndmask_b32_e64 v3, 0, 1, vcc
	v_cmp_ne_u32_e32 vcc, 0, v5
	v_lshrrev_b32_e32 v19, v10, v14
	v_lshlrev_b32_e32 v8, v8, v18
	v_lshl_or_b32 v17, v11, 12, v5
	v_cndmask_b32_e64 v5, 0, 1, vcc
	v_lshlrev_b32_e32 v10, v10, v19
	v_cmp_ne_u32_e32 vcc, v8, v12
	v_cndmask_b32_e64 v8, 0, 1, vcc
	v_cmp_ne_u32_e32 vcc, v10, v14
	v_cndmask_b32_e64 v10, 0, 1, vcc
	v_or_b32_e32 v8, v18, v8
	v_cmp_gt_i32_e32 vcc, 1, v9
	v_cndmask_b32_e32 v8, v13, v8, vcc
	v_or_b32_e32 v10, v19, v10
	v_cmp_gt_i32_e32 vcc, 1, v11
	v_and_b32_e32 v12, 7, v8
	v_cndmask_b32_e32 v10, v17, v10, vcc
	v_cmp_lt_i32_e32 vcc, 5, v12
	v_cmp_eq_u32_e64 s[0:1], 3, v12
	v_lshrrev_b32_e32 v8, 2, v8
	v_and_b32_e32 v13, 7, v10
	s_or_b64 vcc, s[0:1], vcc
	v_cmp_lt_i32_e64 s[2:3], 5, v13
	v_cmp_eq_u32_e64 s[4:5], 3, v13
	v_addc_co_u32_e32 v8, vcc, 0, v8, vcc
	v_lshrrev_b32_e32 v10, 2, v10
	s_or_b64 vcc, s[4:5], s[2:3]
	v_addc_co_u32_e32 v10, vcc, 0, v10, vcc
	v_cmp_gt_i32_e32 vcc, 31, v9
	v_cndmask_b32_e32 v8, v2, v8, vcc
	v_cmp_gt_i32_e32 vcc, 31, v11
	v_lshl_or_b32 v3, v3, 9, v2
	v_cndmask_b32_e32 v10, v2, v10, vcc
	v_cmp_eq_u32_e32 vcc, s11, v9
	v_lshrrev_b32_e32 v4, 16, v4
	v_lshl_or_b32 v5, v5, 9, v2
	v_cndmask_b32_e32 v3, v8, v3, vcc
	v_cmp_eq_u32_e32 vcc, s11, v11
	v_lshrrev_b32_e32 v6, 16, v6
	v_cndmask_b32_e32 v5, v10, v5, vcc
	v_and_or_b32 v3, v4, s14, v3
	v_and_or_b32 v4, v6, s14, v5
	v_and_b32_e32 v3, 0xffff, v3
	v_lshl_or_b32 v3, v4, 16, v3
	global_store_dword v[0:1], v3, off
	global_load_dword v3, v[15:16], off offset:1692
	ds_read_b32 v4, v59 offset:1692
	s_waitcnt lgkmcnt(0)
	v_lshrrev_b32_e32 v5, 16, v4
	s_waitcnt vmcnt(0)
	v_mul_f16_sdwa v6, v5, v3 dst_sel:DWORD dst_unused:UNUSED_PAD src0_sel:DWORD src1_sel:WORD_1
	v_fma_f16 v6, v4, v3, v6
	v_mul_f16_sdwa v4, v4, v3 dst_sel:DWORD dst_unused:UNUSED_PAD src0_sel:DWORD src1_sel:WORD_1
	v_cvt_f32_f16_e32 v6, v6
	v_fma_f16 v3, v3, v5, -v4
	v_cvt_f32_f16_e32 v5, v3
	v_cvt_f64_f32_e32 v[3:4], v6
	v_cvt_f64_f32_e32 v[5:6], v5
	v_mul_f64 v[3:4], v[3:4], s[12:13]
	v_mul_f64 v[5:6], v[5:6], s[12:13]
	v_and_or_b32 v3, v4, s15, v3
	v_cmp_ne_u32_e32 vcc, 0, v3
	v_and_or_b32 v5, v6, s15, v5
	v_lshrrev_b32_e32 v8, 8, v4
	v_bfe_u32 v9, v4, 20, 11
	v_cndmask_b32_e64 v3, 0, 1, vcc
	v_cmp_ne_u32_e32 vcc, 0, v5
	v_lshrrev_b32_e32 v10, 8, v6
	v_bfe_u32 v11, v6, 20, 11
	v_sub_u32_e32 v12, 0x3f1, v9
	v_cndmask_b32_e64 v5, 0, 1, vcc
	v_and_or_b32 v3, v8, s10, v3
	v_sub_u32_e32 v13, 0x3f1, v11
	v_med3_i32 v8, v12, 0, 13
	v_and_or_b32 v5, v10, s10, v5
	v_or_b32_e32 v12, 0x1000, v3
	v_add_u32_e32 v9, 0xfffffc10, v9
	v_med3_i32 v10, v13, 0, 13
	v_cmp_ne_u32_e32 vcc, 0, v3
	v_or_b32_e32 v14, 0x1000, v5
	v_lshrrev_b32_e32 v16, v8, v12
	v_add_u32_e32 v11, 0xfffffc10, v11
	v_lshl_or_b32 v13, v9, 12, v3
	v_cndmask_b32_e64 v3, 0, 1, vcc
	v_cmp_ne_u32_e32 vcc, 0, v5
	v_lshrrev_b32_e32 v17, v10, v14
	v_lshlrev_b32_e32 v8, v8, v16
	v_lshl_or_b32 v15, v11, 12, v5
	v_cndmask_b32_e64 v5, 0, 1, vcc
	v_lshlrev_b32_e32 v10, v10, v17
	v_cmp_ne_u32_e32 vcc, v8, v12
	v_cndmask_b32_e64 v8, 0, 1, vcc
	v_cmp_ne_u32_e32 vcc, v10, v14
	v_cndmask_b32_e64 v10, 0, 1, vcc
	v_or_b32_e32 v8, v16, v8
	v_cmp_gt_i32_e32 vcc, 1, v9
	v_cndmask_b32_e32 v8, v13, v8, vcc
	v_or_b32_e32 v10, v17, v10
	v_cmp_gt_i32_e32 vcc, 1, v11
	v_and_b32_e32 v12, 7, v8
	v_cndmask_b32_e32 v10, v15, v10, vcc
	v_cmp_lt_i32_e32 vcc, 5, v12
	v_cmp_eq_u32_e64 s[0:1], 3, v12
	v_lshrrev_b32_e32 v8, 2, v8
	v_and_b32_e32 v13, 7, v10
	s_or_b64 vcc, s[0:1], vcc
	v_cmp_lt_i32_e64 s[2:3], 5, v13
	v_cmp_eq_u32_e64 s[4:5], 3, v13
	v_addc_co_u32_e32 v8, vcc, 0, v8, vcc
	v_lshrrev_b32_e32 v10, 2, v10
	s_or_b64 vcc, s[4:5], s[2:3]
	v_addc_co_u32_e32 v10, vcc, 0, v10, vcc
	v_cmp_gt_i32_e32 vcc, 31, v9
	v_cndmask_b32_e32 v8, v2, v8, vcc
	v_cmp_gt_i32_e32 vcc, 31, v11
	v_lshl_or_b32 v3, v3, 9, v2
	v_lshl_or_b32 v5, v5, 9, v2
	v_cndmask_b32_e32 v2, v2, v10, vcc
	v_cmp_eq_u32_e32 vcc, s11, v9
	v_lshrrev_b32_e32 v4, 16, v4
	v_cndmask_b32_e32 v3, v8, v3, vcc
	v_cmp_eq_u32_e32 vcc, s11, v11
	v_lshrrev_b32_e32 v6, 16, v6
	v_cndmask_b32_e32 v2, v2, v5, vcc
	v_and_or_b32 v3, v4, s14, v3
	v_and_or_b32 v2, v6, s14, v2
	v_and_b32_e32 v3, 0xffff, v3
	v_add_co_u32_e32 v0, vcc, s6, v0
	v_lshl_or_b32 v2, v2, 16, v3
	v_addc_co_u32_e32 v1, vcc, v1, v7, vcc
	global_store_dword v[0:1], v2, off
.LBB0_31:
	s_endpgm
	.section	.rodata,"a",@progbits
	.p2align	6, 0x0
	.amdhsa_kernel bluestein_single_fwd_len432_dim1_half_op_CI_CI
		.amdhsa_group_segment_fixed_size 3456
		.amdhsa_private_segment_fixed_size 0
		.amdhsa_kernarg_size 104
		.amdhsa_user_sgpr_count 6
		.amdhsa_user_sgpr_private_segment_buffer 1
		.amdhsa_user_sgpr_dispatch_ptr 0
		.amdhsa_user_sgpr_queue_ptr 0
		.amdhsa_user_sgpr_kernarg_segment_ptr 1
		.amdhsa_user_sgpr_dispatch_id 0
		.amdhsa_user_sgpr_flat_scratch_init 0
		.amdhsa_user_sgpr_private_segment_size 0
		.amdhsa_uses_dynamic_stack 0
		.amdhsa_system_sgpr_private_segment_wavefront_offset 0
		.amdhsa_system_sgpr_workgroup_id_x 1
		.amdhsa_system_sgpr_workgroup_id_y 0
		.amdhsa_system_sgpr_workgroup_id_z 0
		.amdhsa_system_sgpr_workgroup_info 0
		.amdhsa_system_vgpr_workitem_id 0
		.amdhsa_next_free_vgpr 127
		.amdhsa_next_free_sgpr 19
		.amdhsa_reserve_vcc 1
		.amdhsa_reserve_flat_scratch 0
		.amdhsa_float_round_mode_32 0
		.amdhsa_float_round_mode_16_64 0
		.amdhsa_float_denorm_mode_32 3
		.amdhsa_float_denorm_mode_16_64 3
		.amdhsa_dx10_clamp 1
		.amdhsa_ieee_mode 1
		.amdhsa_fp16_overflow 0
		.amdhsa_exception_fp_ieee_invalid_op 0
		.amdhsa_exception_fp_denorm_src 0
		.amdhsa_exception_fp_ieee_div_zero 0
		.amdhsa_exception_fp_ieee_overflow 0
		.amdhsa_exception_fp_ieee_underflow 0
		.amdhsa_exception_fp_ieee_inexact 0
		.amdhsa_exception_int_div_zero 0
	.end_amdhsa_kernel
	.text
.Lfunc_end0:
	.size	bluestein_single_fwd_len432_dim1_half_op_CI_CI, .Lfunc_end0-bluestein_single_fwd_len432_dim1_half_op_CI_CI
                                        ; -- End function
	.section	.AMDGPU.csdata,"",@progbits
; Kernel info:
; codeLenInByte = 23592
; NumSgprs: 23
; NumVgprs: 127
; ScratchSize: 0
; MemoryBound: 0
; FloatMode: 240
; IeeeMode: 1
; LDSByteSize: 3456 bytes/workgroup (compile time only)
; SGPRBlocks: 2
; VGPRBlocks: 31
; NumSGPRsForWavesPerEU: 23
; NumVGPRsForWavesPerEU: 127
; Occupancy: 2
; WaveLimiterHint : 1
; COMPUTE_PGM_RSRC2:SCRATCH_EN: 0
; COMPUTE_PGM_RSRC2:USER_SGPR: 6
; COMPUTE_PGM_RSRC2:TRAP_HANDLER: 0
; COMPUTE_PGM_RSRC2:TGID_X_EN: 1
; COMPUTE_PGM_RSRC2:TGID_Y_EN: 0
; COMPUTE_PGM_RSRC2:TGID_Z_EN: 0
; COMPUTE_PGM_RSRC2:TIDIG_COMP_CNT: 0
	.type	__hip_cuid_8cd6e588b36b4a59,@object ; @__hip_cuid_8cd6e588b36b4a59
	.section	.bss,"aw",@nobits
	.globl	__hip_cuid_8cd6e588b36b4a59
__hip_cuid_8cd6e588b36b4a59:
	.byte	0                               ; 0x0
	.size	__hip_cuid_8cd6e588b36b4a59, 1

	.ident	"AMD clang version 19.0.0git (https://github.com/RadeonOpenCompute/llvm-project roc-6.4.0 25133 c7fe45cf4b819c5991fe208aaa96edf142730f1d)"
	.section	".note.GNU-stack","",@progbits
	.addrsig
	.addrsig_sym __hip_cuid_8cd6e588b36b4a59
	.amdgpu_metadata
---
amdhsa.kernels:
  - .args:
      - .actual_access:  read_only
        .address_space:  global
        .offset:         0
        .size:           8
        .value_kind:     global_buffer
      - .actual_access:  read_only
        .address_space:  global
        .offset:         8
        .size:           8
        .value_kind:     global_buffer
      - .actual_access:  read_only
        .address_space:  global
        .offset:         16
        .size:           8
        .value_kind:     global_buffer
      - .actual_access:  read_only
        .address_space:  global
        .offset:         24
        .size:           8
        .value_kind:     global_buffer
      - .actual_access:  read_only
        .address_space:  global
        .offset:         32
        .size:           8
        .value_kind:     global_buffer
      - .offset:         40
        .size:           8
        .value_kind:     by_value
      - .address_space:  global
        .offset:         48
        .size:           8
        .value_kind:     global_buffer
      - .address_space:  global
        .offset:         56
        .size:           8
        .value_kind:     global_buffer
      - .address_space:  global
        .offset:         64
        .size:           8
        .value_kind:     global_buffer
      - .address_space:  global
        .offset:         72
        .size:           8
        .value_kind:     global_buffer
      - .offset:         80
        .size:           4
        .value_kind:     by_value
      - .address_space:  global
        .offset:         88
        .size:           8
        .value_kind:     global_buffer
      - .address_space:  global
        .offset:         96
        .size:           8
        .value_kind:     global_buffer
    .group_segment_fixed_size: 3456
    .kernarg_segment_align: 8
    .kernarg_segment_size: 104
    .language:       OpenCL C
    .language_version:
      - 2
      - 0
    .max_flat_workgroup_size: 54
    .name:           bluestein_single_fwd_len432_dim1_half_op_CI_CI
    .private_segment_fixed_size: 0
    .sgpr_count:     23
    .sgpr_spill_count: 0
    .symbol:         bluestein_single_fwd_len432_dim1_half_op_CI_CI.kd
    .uniform_work_group_size: 1
    .uses_dynamic_stack: false
    .vgpr_count:     127
    .vgpr_spill_count: 0
    .wavefront_size: 64
amdhsa.target:   amdgcn-amd-amdhsa--gfx906
amdhsa.version:
  - 1
  - 2
...

	.end_amdgpu_metadata
